;; amdgpu-corpus repo=ROCm/rocFFT kind=compiled arch=gfx1201 opt=O3
	.text
	.amdgcn_target "amdgcn-amd-amdhsa--gfx1201"
	.amdhsa_code_object_version 6
	.protected	bluestein_single_fwd_len1040_dim1_half_op_CI_CI ; -- Begin function bluestein_single_fwd_len1040_dim1_half_op_CI_CI
	.globl	bluestein_single_fwd_len1040_dim1_half_op_CI_CI
	.p2align	8
	.type	bluestein_single_fwd_len1040_dim1_half_op_CI_CI,@function
bluestein_single_fwd_len1040_dim1_half_op_CI_CI: ; @bluestein_single_fwd_len1040_dim1_half_op_CI_CI
; %bb.0:
	s_load_b128 s[4:7], s[0:1], 0x28
	v_mul_u32_u24_e32 v1, 0x13c, v0
	s_mov_b32 s2, exec_lo
	v_mov_b32_e32 v20, 0
	s_delay_alu instid0(VALU_DEP_2) | instskip(NEXT) | instid1(VALU_DEP_1)
	v_lshrrev_b32_e32 v1, 16, v1
	v_add_nc_u32_e32 v19, ttmp9, v1
	s_wait_kmcnt 0x0
	s_delay_alu instid0(VALU_DEP_1)
	v_cmpx_gt_u64_e64 s[4:5], v[19:20]
	s_cbranch_execz .LBB0_23
; %bb.1:
	v_mul_lo_u16 v1, 0xd0, v1
	s_clause 0x1
	s_load_b64 s[24:25], s[0:1], 0x0
	s_load_b64 s[4:5], s[0:1], 0x38
	s_delay_alu instid0(VALU_DEP_1) | instskip(NEXT) | instid1(VALU_DEP_1)
	v_sub_nc_u16 v0, v0, v1
	v_and_b32_e32 v40, 0xffff, v0
	v_cmp_gt_u16_e32 vcc_lo, 0x50, v0
	s_delay_alu instid0(VALU_DEP_2)
	v_lshlrev_b32_e32 v38, 2, v40
	v_or_b32_e32 v39, 0x280, v40
	s_and_saveexec_b32 s3, vcc_lo
	s_cbranch_execz .LBB0_3
; %bb.2:
	s_load_b64 s[8:9], s[0:1], 0x18
	s_wait_kmcnt 0x0
	s_load_b128 s[8:11], s[8:9], 0x0
	s_clause 0xc
	global_load_b32 v10, v38, s[24:25]
	global_load_b32 v11, v38, s[24:25] offset:320
	global_load_b32 v12, v38, s[24:25] offset:640
	;; [unrolled: 1-line block ×12, first 2 shown]
	s_wait_kmcnt 0x0
	v_mad_co_u64_u32 v[0:1], null, s10, v19, 0
	v_mad_co_u64_u32 v[2:3], null, s8, v40, 0
	;; [unrolled: 1-line block ×3, first 2 shown]
	s_delay_alu instid0(VALU_DEP_2) | instskip(NEXT) | instid1(VALU_DEP_3)
	v_mad_co_u64_u32 v[6:7], null, s11, v19, v[1:2]
	v_mov_b32_e32 v1, v3
	s_delay_alu instid0(VALU_DEP_3) | instskip(SKIP_1) | instid1(VALU_DEP_2)
	v_mov_b32_e32 v3, v5
	s_mul_u64 s[10:11], s[8:9], 0x140
	v_mad_co_u64_u32 v[7:8], null, s9, v40, v[1:2]
	s_delay_alu instid0(VALU_DEP_4) | instskip(NEXT) | instid1(VALU_DEP_3)
	v_mov_b32_e32 v1, v6
	v_mad_co_u64_u32 v[5:6], null, s9, v39, v[3:4]
	s_delay_alu instid0(VALU_DEP_2) | instskip(NEXT) | instid1(VALU_DEP_4)
	v_lshlrev_b64_e32 v[0:1], 2, v[0:1]
	v_mov_b32_e32 v3, v7
	s_delay_alu instid0(VALU_DEP_1) | instskip(NEXT) | instid1(VALU_DEP_3)
	v_lshlrev_b64_e32 v[2:3], 2, v[2:3]
	v_add_co_u32 v6, s2, s6, v0
	s_delay_alu instid0(VALU_DEP_1) | instskip(NEXT) | instid1(VALU_DEP_2)
	v_add_co_ci_u32_e64 v7, s2, s7, v1, s2
	v_add_co_u32 v0, s2, v6, v2
	s_wait_alu 0xf1ff
	s_delay_alu instid0(VALU_DEP_2)
	v_add_co_ci_u32_e64 v1, s2, v7, v3, s2
	v_lshlrev_b64_e32 v[2:3], 2, v[4:5]
	s_wait_alu 0xfffe
	v_add_co_u32 v4, s2, v0, s10
	s_wait_alu 0xf1ff
	v_add_co_ci_u32_e64 v5, s2, s11, v1, s2
	global_load_b32 v24, v[0:1], off
	v_add_co_u32 v2, s2, v6, v2
	s_wait_alu 0xf1ff
	v_add_co_ci_u32_e64 v3, s2, v7, v3, s2
	v_add_co_u32 v6, s2, v4, s10
	s_wait_alu 0xf1ff
	v_add_co_ci_u32_e64 v7, s2, s11, v5, s2
	s_clause 0x2
	global_load_b32 v25, v[2:3], off
	global_load_b32 v26, v[4:5], off
	;; [unrolled: 1-line block ×3, first 2 shown]
	v_add_co_u32 v0, s2, v6, s10
	s_wait_alu 0xf1ff
	v_add_co_ci_u32_e64 v1, s2, s11, v7, s2
	s_delay_alu instid0(VALU_DEP_2)
	v_add_co_u32 v2, s2, v0, s10
	global_load_b32 v28, v[0:1], off
	s_wait_alu 0xf1ff
	v_add_co_ci_u32_e64 v3, s2, s11, v1, s2
	v_add_co_u32 v4, s2, v2, s10
	s_wait_alu 0xf1ff
	s_delay_alu instid0(VALU_DEP_2) | instskip(NEXT) | instid1(VALU_DEP_2)
	v_add_co_ci_u32_e64 v5, s2, s11, v3, s2
	v_add_co_u32 v6, s2, v4, s10
	global_load_b32 v29, v[2:3], off
	global_load_b32 v4, v[4:5], off
	s_wait_alu 0xf1ff
	v_add_co_ci_u32_e64 v7, s2, s11, v5, s2
	v_add_co_u32 v8, s2, v6, s10
	s_wait_alu 0xf1ff
	s_delay_alu instid0(VALU_DEP_2) | instskip(SKIP_3) | instid1(VALU_DEP_1)
	v_add_co_ci_u32_e64 v9, s2, s11, v7, s2
	global_load_b32 v5, v[6:7], off
	global_load_b32 v6, v[8:9], off
	v_mad_co_u64_u32 v[0:1], null, 0x280, s8, v[8:9]
	v_mad_co_u64_u32 v[1:2], null, 0x280, s9, v[1:2]
	s_delay_alu instid0(VALU_DEP_2) | instskip(SKIP_1) | instid1(VALU_DEP_2)
	v_add_co_u32 v2, s2, v0, s10
	s_wait_alu 0xf1ff
	v_add_co_ci_u32_e64 v3, s2, s11, v1, s2
	global_load_b32 v7, v[0:1], off
	v_add_co_u32 v0, s2, v2, s10
	s_wait_alu 0xf1ff
	v_add_co_ci_u32_e64 v1, s2, s11, v3, s2
	global_load_b32 v8, v[2:3], off
	;; [unrolled: 4-line block ×3, first 2 shown]
	global_load_b32 v1, v[2:3], off
	v_add_nc_u32_e32 v2, 0x400, v38
	v_add_nc_u32_e32 v3, 0x600, v38
	s_wait_loadcnt 0x19
	v_lshrrev_b32_e32 v9, 16, v10
	s_wait_loadcnt 0x18
	v_lshrrev_b32_e32 v30, 16, v11
	;; [unrolled: 2-line block ×5, first 2 shown]
	v_lshrrev_b32_e32 v33, 16, v14
	v_lshrrev_b32_e32 v34, 16, v15
	;; [unrolled: 1-line block ×4, first 2 shown]
	s_wait_loadcnt 0x10
	v_lshrrev_b32_e32 v41, 16, v20
	s_wait_loadcnt 0xf
	v_lshrrev_b32_e32 v42, 16, v21
	;; [unrolled: 2-line block ×5, first 2 shown]
	v_mul_f16_e32 v45, v9, v24
	s_delay_alu instid0(VALU_DEP_2) | instskip(NEXT) | instid1(VALU_DEP_2)
	v_mul_f16_e32 v9, v9, v44
	v_fma_f16 v44, v10, v44, -v45
	s_wait_loadcnt 0xb
	v_lshrrev_b32_e32 v47, 16, v25
	s_wait_loadcnt 0xa
	v_lshrrev_b32_e32 v45, 16, v26
	v_mul_f16_e32 v48, v37, v25
	v_mul_f16_e32 v49, v30, v26
	v_fmac_f16_e32 v9, v10, v24
	v_mul_f16_e32 v37, v37, v47
	v_mul_f16_e32 v10, v30, v45
	s_wait_loadcnt 0x9
	v_lshrrev_b32_e32 v30, 16, v27
	v_fma_f16 v24, v11, v45, -v49
	v_mul_f16_e32 v45, v31, v27
	v_fmac_f16_e32 v37, v18, v25
	v_fmac_f16_e32 v10, v11, v26
	v_mul_f16_e32 v11, v31, v30
	s_wait_loadcnt 0x8
	v_lshrrev_b32_e32 v25, 16, v28
	v_mul_f16_e32 v26, v32, v28
	v_fma_f16 v47, v18, v47, -v48
	v_pack_b32_f16 v9, v9, v44
	v_fma_f16 v18, v12, v30, -v45
	v_pack_b32_f16 v10, v10, v24
	v_fmac_f16_e32 v11, v12, v27
	v_mul_f16_e32 v12, v32, v25
	v_fma_f16 v24, v13, v25, -v26
	s_wait_loadcnt 0x7
	v_lshrrev_b32_e32 v25, 16, v29
	v_mul_f16_e32 v26, v33, v29
	ds_store_2addr_b32 v38, v9, v10 offset1:80
	v_pack_b32_f16 v9, v11, v18
	v_fmac_f16_e32 v12, v13, v28
	v_mul_f16_e32 v10, v33, v25
	s_wait_loadcnt 0x6
	v_lshrrev_b32_e32 v11, 16, v4
	v_mul_f16_e32 v13, v34, v4
	v_fma_f16 v18, v14, v25, -v26
	v_pack_b32_f16 v12, v12, v24
	v_fmac_f16_e32 v10, v14, v29
	v_mul_f16_e32 v14, v34, v11
	v_fma_f16 v11, v15, v11, -v13
	s_wait_loadcnt 0x5
	v_lshrrev_b32_e32 v13, 16, v5
	v_mul_f16_e32 v24, v35, v5
	ds_store_2addr_b32 v38, v9, v12 offset0:160 offset1:240
	v_pack_b32_f16 v9, v10, v18
	s_wait_loadcnt 0x4
	v_lshrrev_b32_e32 v10, 16, v6
	v_fmac_f16_e32 v14, v15, v4
	v_mul_f16_e32 v4, v35, v13
	v_fma_f16 v12, v16, v13, -v24
	v_mul_f16_e32 v13, v36, v6
	v_mul_f16_e32 v15, v36, v10
	v_pack_b32_f16 v11, v14, v11
	v_fmac_f16_e32 v4, v16, v5
	v_pack_b32_f16 v30, v37, v47
	v_fma_f16 v10, v17, v10, -v13
	v_fmac_f16_e32 v15, v17, v6
	s_wait_loadcnt 0x3
	v_lshrrev_b32_e32 v5, 16, v7
	v_mul_f16_e32 v6, v41, v7
	v_pack_b32_f16 v4, v4, v12
	v_pack_b32_f16 v10, v15, v10
	s_delay_alu instid0(VALU_DEP_4)
	v_mul_f16_e32 v12, v41, v5
	s_wait_loadcnt 0x2
	v_lshrrev_b32_e32 v13, 16, v8
	v_fma_f16 v5, v20, v5, -v6
	v_mul_f16_e32 v6, v42, v8
	v_fmac_f16_e32 v12, v20, v7
	s_wait_loadcnt 0x1
	v_lshrrev_b32_e32 v14, 16, v0
	s_wait_loadcnt 0x0
	v_lshrrev_b32_e32 v15, 16, v1
	v_mul_f16_e32 v7, v42, v13
	v_fma_f16 v6, v21, v13, -v6
	v_mul_f16_e32 v13, v43, v0
	v_pack_b32_f16 v5, v12, v5
	v_mul_f16_e32 v12, v43, v14
	v_mul_f16_e32 v16, v46, v15
	v_mul_f16_e32 v17, v46, v1
	v_fmac_f16_e32 v7, v21, v8
	v_fma_f16 v8, v22, v14, -v13
	v_fmac_f16_e32 v12, v22, v0
	v_fmac_f16_e32 v16, v23, v1
	v_fma_f16 v0, v23, v15, -v17
	v_add_nc_u32_e32 v1, 0x800, v38
	v_pack_b32_f16 v6, v7, v6
	v_pack_b32_f16 v7, v12, v8
	v_add_nc_u32_e32 v8, 0xc00, v38
	v_pack_b32_f16 v0, v16, v0
	ds_store_2addr_b32 v2, v9, v11 offset0:64 offset1:144
	ds_store_2addr_b32 v3, v4, v10 offset0:96 offset1:176
	;; [unrolled: 1-line block ×4, first 2 shown]
	ds_store_b32 v38, v0 offset:3840
.LBB0_3:
	s_or_b32 exec_lo, exec_lo, s3
	v_mov_b32_e32 v0, 0
	global_wb scope:SCOPE_SE
	s_wait_dscnt 0x0
	s_wait_kmcnt 0x0
	s_barrier_signal -1
	s_barrier_wait -1
	global_inv scope:SCOPE_SE
                                        ; implicit-def: $vgpr7
                                        ; implicit-def: $vgpr4
                                        ; implicit-def: $vgpr9
                                        ; implicit-def: $vgpr2
                                        ; implicit-def: $vgpr11
                                        ; implicit-def: $vgpr12
	s_and_saveexec_b32 s2, vcc_lo
	s_cbranch_execz .LBB0_5
; %bb.4:
	v_add_nc_u32_e32 v2, 0x400, v38
	v_add_nc_u32_e32 v3, 0x600, v38
	;; [unrolled: 1-line block ×4, first 2 shown]
	ds_load_2addr_b32 v[0:1], v38 offset1:80
	ds_load_2addr_b32 v[10:11], v38 offset0:160 offset1:240
	ds_load_2addr_b32 v[8:9], v2 offset0:64 offset1:144
	;; [unrolled: 1-line block ×5, first 2 shown]
	ds_load_b32 v12, v38 offset:3840
.LBB0_5:
	s_wait_alu 0xfffe
	s_or_b32 exec_lo, exec_lo, s2
	s_wait_dscnt 0x0
	v_pk_add_f16 v17, v1, v12 neg_lo:[0,1] neg_hi:[0,1]
	v_pk_add_f16 v13, v12, v1
	v_pk_add_f16 v30, v10, v3 neg_lo:[0,1] neg_hi:[0,1]
	v_pk_add_f16 v47, v11, v2 neg_lo:[0,1] neg_hi:[0,1]
	v_pk_add_f16 v1, v1, v0
	v_mul_f16_e32 v14, 0xba95, v17
	v_lshrrev_b32_e32 v20, 16, v13
	v_mul_f16_e32 v15, 0xbbf1, v17
	v_mul_f16_e32 v35, 0xba95, v30
	;; [unrolled: 1-line block ×4, first 2 shown]
	v_fmamk_f16 v25, v20, 0x388b, v14
	v_fma_f16 v26, v20, 0x388b, -v14
	v_fmamk_f16 v27, v20, 0x2fb7, v15
	v_fma_f16 v28, v20, 0x2fb7, -v15
	v_mul_f16_e32 v15, 0xb94e, v17
	v_pk_add_f16 v14, v3, v10
	v_mul_f16_e32 v48, 0x3bf1, v30
	v_lshrrev_b32_e32 v18, 16, v17
	v_mul_f16_e32 v51, 0xbbf1, v47
	v_fmamk_f16 v32, v20, 0xb9fd, v15
	v_lshrrev_b32_e32 v34, 16, v14
	v_fma_f16 v36, v20, 0xb9fd, -v15
	v_mul_f16_e32 v15, 0xbb7b, v30
	v_mul_f16_e32 v53, 0xb3a8, v47
	;; [unrolled: 1-line block ×3, first 2 shown]
	v_fmamk_f16 v42, v34, 0x388b, v35
	v_fma_f16 v35, v34, 0x388b, -v35
	v_fmamk_f16 v43, v34, 0xb5ac, v15
	v_fma_f16 v44, v34, 0xb5ac, -v15
	v_pk_add_f16 v15, v2, v11
	v_fmamk_f16 v45, v34, 0xbbc4, v41
	v_fma_f16 v41, v34, 0xbbc4, -v41
	v_fmamk_f16 v49, v34, 0xb9fd, v46
	v_fma_f16 v46, v34, 0xb9fd, -v46
	v_lshrrev_b32_e32 v50, 16, v15
	v_fmamk_f16 v52, v34, 0x2fb7, v48
	v_fma_f16 v34, v34, 0x2fb7, -v48
	v_mul_f16_e32 v48, 0x3b7b, v47
	v_pk_add_f16 v58, v5, v8
	v_pk_add_f16 v59, v8, v5 neg_lo:[0,1] neg_hi:[0,1]
	v_mul_f16_e32 v60, 0xba95, v47
	v_pk_add_f16 v1, v10, v1
	v_mul_f16_e32 v16, 0xb770, v17
	v_mul_f16_e32 v22, 0xb770, v18
	v_lshrrev_b32_e32 v33, 16, v30
	v_fmamk_f16 v54, v50, 0x2fb7, v51
	v_fma_f16 v51, v50, 0x2fb7, -v51
	v_fmamk_f16 v55, v50, 0xbbc4, v53
	v_fma_f16 v53, v50, 0xbbc4, -v53
	;; [unrolled: 2-line block ×4, first 2 shown]
	v_lshrrev_b32_e32 v62, 16, v58
	v_mul_f16_e32 v63, 0xbb7b, v59
	v_fmamk_f16 v64, v50, 0x388b, v60
	v_mul_f16_e32 v65, 0x394e, v59
	v_fma_f16 v50, v50, 0x388b, -v60
	v_mul_f16_e32 v60, 0x3770, v59
	v_mul_f16_e32 v69, 0xbbf1, v59
	v_pk_add_f16 v70, v4, v9
	v_pk_add_f16 v71, v9, v4 neg_lo:[0,1] neg_hi:[0,1]
	v_mul_f16_e32 v72, 0x33a8, v59
	v_pk_add_f16 v83, v7, v6
	v_pk_add_f16 v84, v6, v7 neg_lo:[0,1] neg_hi:[0,1]
	v_pk_add_f16 v1, v11, v1
	v_mul_f16_e32 v21, 0xbb7b, v17
	v_fma_f16 v23, v20, 0x3b15, -v16
	v_mul_f16_e32 v24, 0xba95, v18
	v_fmamk_f16 v29, v13, 0x3b15, v22
	v_mul_f16_e32 v37, 0xba95, v33
	v_fmamk_f16 v66, v62, 0xb5ac, v63
	v_fma_f16 v63, v62, 0xb5ac, -v63
	v_fmamk_f16 v67, v62, 0xb9fd, v65
	v_fma_f16 v65, v62, 0xb9fd, -v65
	v_fmamk_f16 v68, v62, 0x3b15, v60
	v_fma_f16 v60, v62, 0x3b15, -v60
	v_fmamk_f16 v73, v62, 0x2fb7, v69
	v_lshrrev_b32_e32 v74, 16, v70
	v_mul_f16_e32 v75, 0xb94e, v71
	v_fma_f16 v69, v62, 0x2fb7, -v69
	v_fmamk_f16 v76, v62, 0xbbc4, v72
	v_fma_f16 v62, v62, 0xbbc4, -v72
	v_mul_f16_e32 v72, 0x3bf1, v71
	v_mul_f16_e32 v78, 0xba95, v71
	;; [unrolled: 1-line block ×4, first 2 shown]
	v_lshrrev_b32_e32 v86, 16, v83
	v_mul_f16_e32 v87, 0xb3a8, v84
	v_mul_f16_e32 v10, 0x3770, v84
	v_mul_f16_e32 v89, 0xb94e, v84
	v_mul_f16_e32 v90, 0x3a95, v84
	v_pk_add_f16 v1, v8, v1
	v_mul_f16_e32 v8, 0xbb7b, v84
	v_lshrrev_b32_e32 v93, 16, v0
	v_fmamk_f16 v31, v20, 0xb5ac, v21
	v_fma_f16 v21, v20, 0xb5ac, -v21
	v_fmamk_f16 v77, v74, 0xb9fd, v75
	v_fma_f16 v75, v74, 0xb9fd, -v75
	;; [unrolled: 2-line block ×10, first 2 shown]
	v_pk_add_f16 v1, v9, v1
	v_fmamk_f16 v9, v86, 0xb5ac, v8
	v_fma_f16 v8, v86, 0xb5ac, -v8
	v_fma_f16 v86, v14, 0x388b, -v37
	v_fmac_f16_e32 v37, 0x388b, v14
	v_add_f16_e32 v29, v29, v0
	v_add_f16_e32 v23, v23, v93
	v_mul_f16_e32 v94, 0xbb7b, v33
	v_fma_f16 v95, v13, 0x388b, -v24
	v_add_f16_e32 v25, v25, v93
	v_add_f16_e32 v26, v26, v93
	v_add_f16_e32 v27, v27, v93
	v_add_f16_e32 v28, v28, v93
	v_add_f16_e32 v31, v31, v93
	v_add_f16_e32 v21, v21, v93
	v_add_f16_e32 v32, v32, v93
	v_add_f16_e32 v36, v36, v93
	v_add_f16_e32 v29, v37, v29
	v_fmac_f16_e32 v24, 0x388b, v13
	v_fma_f16 v37, v14, 0xb5ac, -v94
	v_add_f16_e32 v93, v95, v0
	v_add_f16_e32 v23, v35, v23
	v_mul_f16_e32 v35, 0xbbf1, v18
	v_fmac_f16_e32 v94, 0xb5ac, v14
	v_add_f16_e32 v24, v24, v0
	v_add_f16_e32 v37, v37, v93
	v_mul_f16_e32 v93, 0xb3a8, v33
	v_fma_f16 v95, v13, 0x2fb7, -v35
	v_add_f16_e32 v25, v43, v25
	v_add_f16_e32 v24, v94, v24
	v_fmac_f16_e32 v35, 0x2fb7, v13
	v_fma_f16 v43, v14, 0xbbc4, -v93
	v_add_f16_e32 v94, v95, v0
	v_add_f16_e32 v26, v44, v26
	v_mul_f16_e32 v44, 0xbb7b, v18
	v_fmac_f16_e32 v93, 0xbbc4, v14
	v_add_f16_e32 v35, v35, v0
	v_add_f16_e32 v43, v43, v94
	;; [unrolled: 1-line block ×3, first 2 shown]
	v_mul_f16_e32 v45, 0x394e, v33
	v_fma_f16 v94, v13, 0xb5ac, -v44
	v_fmac_f16_e32 v44, 0xb5ac, v13
	v_add_f16_e32 v35, v93, v35
	v_add_f16_e32 v28, v41, v28
	v_fma_f16 v41, v14, 0xb9fd, -v45
	v_add_f16_e32 v93, v94, v0
	v_mul_f16_e32 v18, 0xb94e, v18
	v_fmac_f16_e32 v45, 0xb9fd, v14
	v_add_f16_e32 v44, v44, v0
	v_mul_f16_e32 v33, 0x3bf1, v33
	v_add_f16_e32 v41, v41, v93
	v_fma_f16 v93, v13, 0xb9fd, -v18
	v_fmac_f16_e32 v18, 0xb9fd, v13
	v_add_f16_e32 v44, v45, v44
	v_lshrrev_b32_e32 v45, 16, v47
	v_add_f16_e32 v31, v49, v31
	v_fma_f16 v49, v14, 0x2fb7, -v33
	v_fmac_f16_e32 v33, 0x2fb7, v14
	v_add_f16_e32 v21, v46, v21
	v_mul_f16_e32 v46, 0xbbf1, v45
	v_add_f16_e32 v18, v18, v0
	v_add_f16_e32 v32, v52, v32
	v_add_f16_e32 v93, v93, v0
	v_pk_mul_f16 v17, 0xb3a8, v17 op_sel_hi:[0,1]
	v_fma_f16 v52, v15, 0x2fb7, -v46
	v_add_f16_e32 v18, v33, v18
	v_fmac_f16_e32 v46, 0x2fb7, v15
	v_mul_f16_e32 v33, 0xb3a8, v45
	v_add_f16_e32 v23, v51, v23
	v_mul_f16_e32 v51, 0x3b7b, v45
	v_add_f16_e32 v49, v49, v93
	v_add_f16_e32 v29, v46, v29
	v_fma_f16 v46, v15, 0xbbc4, -v33
	v_fmac_f16_e32 v33, 0xbbc4, v15
	v_pk_fma_f16 v93, 0xbbc4, v13, v17 op_sel:[0,0,1] op_sel_hi:[0,1,0] neg_lo:[0,0,1] neg_hi:[0,0,1]
	v_pk_mul_f16 v30, 0x3770, v30 op_sel_hi:[0,1]
	v_add_f16_e32 v25, v55, v25
	v_add_f16_e32 v37, v46, v37
	v_mul_f16_e32 v46, 0x3770, v45
	v_fma_f16 v55, v15, 0xb5ac, -v51
	v_add_f16_e32 v24, v33, v24
	v_mul_f16_e32 v45, 0xba95, v45
	v_add_f16_e32 v26, v53, v26
	v_fma_f16 v33, v15, 0x3b15, -v46
	v_lshrrev_b32_e32 v53, 16, v59
	v_fmac_f16_e32 v46, 0x3b15, v15
	v_pk_add_f16 v93, v93, v0
	v_pk_fma_f16 v94, 0x3b15, v14, v30 op_sel:[0,0,1] op_sel_hi:[0,1,0] neg_lo:[0,0,1] neg_hi:[0,0,1]
	v_add_f16_e32 v43, v55, v43
	v_fma_f16 v55, v15, 0x388b, -v45
	v_add_f16_e32 v44, v46, v44
	v_mul_f16_e32 v46, 0xbbf1, v53
	v_add_f16_e32 v34, v34, v36
	v_pk_add_f16 v36, v94, v93
	v_mul_f16_e32 v93, 0x3b15, v13
	v_add_f16_e32 v28, v48, v28
	v_add_f16_e32 v33, v33, v41
	;; [unrolled: 1-line block ×4, first 2 shown]
	v_fma_f16 v55, v58, 0x2fb7, -v46
	v_mul_f16_e32 v20, 0x3b15, v20
	v_add_f16_e32 v28, v60, v28
	v_add_f16_e32 v31, v73, v31
	v_alignbit_b32 v60, s0, v6, 16
	v_add_f16_e32 v33, v55, v33
	v_alignbit_b32 v55, s0, v1, 16
	v_lshlrev_b32_e32 v73, 16, v93
	v_alignbit_b32 v22, v22, v6, 16
	v_fmac_f16_e32 v51, 0xb5ac, v15
	v_pack_b32_f16 v1, v20, v1
	v_pk_add_f16 v55, v55, v60
	v_perm_b32 v6, v6, v16, 0x5040100
	v_pk_add_f16 v22, v73, v22 neg_lo:[0,1] neg_hi:[0,1]
	v_add_f16_e32 v27, v56, v27
	v_mul_f16_e32 v56, 0xbb7b, v53
	v_fmac_f16_e32 v45, 0x388b, v15
	v_add_f16_e32 v35, v51, v35
	v_mul_f16_e32 v51, 0x394e, v53
	v_mul_f16_e32 v61, 0x3770, v53
	v_pk_mul_f16 v47, 0xb94e, v47 op_sel_hi:[0,1]
	v_mul_f16_e32 v53, 0x33a8, v53
	v_bfi_b32 v22, 0xffff, v55, v22
	v_pk_add_f16 v1, v6, v1
	v_alignbit_b32 v6, v0, v7, 16
	v_alignbit_b32 v7, v7, v0, 16
	v_add_f16_e32 v21, v57, v21
	v_fma_f16 v57, v58, 0x3b15, -v61
	v_fmac_f16_e32 v61, 0x3b15, v58
	v_add_f16_e32 v32, v64, v32
	v_add_f16_e32 v18, v45, v18
	v_pk_fma_f16 v45, 0xb9fd, v15, v47 op_sel:[0,0,1] op_sel_hi:[0,1,0] neg_lo:[0,0,1] neg_hi:[0,0,1]
	v_lshrrev_b32_e32 v64, 16, v71
	v_add_f16_e32 v34, v50, v34
	v_fma_f16 v50, v58, 0xbbc4, -v53
	v_pk_add_f16 v6, v6, v22
	v_alignbit_b32 v86, v86, v4, 16
	v_pk_add_f16 v1, v1, v7
	v_perm_b32 v4, v4, v42, 0x5040100
	v_fma_f16 v48, v58, 0xb5ac, -v56
	v_pk_add_f16 v36, v45, v36
	v_mul_f16_e32 v45, 0xb94e, v64
	v_add_f16_e32 v25, v67, v25
	v_mul_f16_e32 v67, 0xba95, v64
	v_add_f16_e32 v35, v61, v35
	v_lshrrev_b32_e32 v61, 16, v84
	v_pk_add_f16 v6, v86, v6
	v_alignbit_b32 v42, v52, v5, 16
	v_pk_add_f16 v1, v4, v1
	v_perm_b32 v4, v5, v54, 0x5040100
	v_add_f16_e32 v5, v50, v49
	v_pk_mul_f16 v49, 0x3a95, v59 op_sel_hi:[0,1]
	v_fmac_f16_e32 v56, 0xb5ac, v58
	v_add_f16_e32 v23, v63, v23
	v_fma_f16 v63, v70, 0xb9fd, -v45
	v_add_f16_e32 v26, v65, v26
	v_fma_f16 v65, v70, 0x388b, -v67
	v_add_f16_e32 v43, v57, v43
	v_mul_f16_e32 v93, 0xb3a8, v61
	v_pk_add_f16 v6, v42, v6
	v_alignbit_b32 v42, v48, v2, 16
	v_pk_add_f16 v1, v4, v1
	v_perm_b32 v2, v2, v66, 0x5040100
	v_add_f16_e32 v4, v76, v32
	v_pk_fma_f16 v32, 0x388b, v58, v49 op_sel:[0,0,1] op_sel_hi:[0,1,0] neg_lo:[0,0,1] neg_hi:[0,0,1]
	v_fmac_f16_e32 v53, 0xbbc4, v58
	v_add_f16_e32 v29, v56, v29
	v_fmac_f16_e32 v45, 0xb9fd, v70
	v_fma_f16 v73, v83, 0xbbc4, -v93
	v_add_f16_e32 v21, v69, v21
	v_pk_add_f16 v6, v42, v6
	v_alignbit_b32 v42, v63, v3, 16
	v_pk_add_f16 v1, v2, v1
	v_perm_b32 v2, v3, v77, 0x5040100
	v_pk_add_f16 v32, v32, v36
	v_add_f16_e32 v36, v65, v43
	v_pk_mul_f16 v43, 0xbb7b, v71 op_sel_hi:[0,1]
	v_add_f16_e32 v3, v53, v18
	v_add_f16_e32 v18, v62, v34
	v_pk_add_f16 v6, v42, v6
	v_pk_add_f16 v1, v2, v1
	v_add_f16_e32 v2, v45, v29
	v_add_f16_e32 v34, v72, v26
	;; [unrolled: 1-line block ×3, first 2 shown]
	v_pk_fma_f16 v21, 0xb5ac, v70, v43 op_sel:[0,0,1] op_sel_hi:[0,1,0] neg_lo:[0,0,1] neg_hi:[0,0,1]
	v_alignbit_b32 v26, v73, v12, 16
	v_perm_b32 v12, v12, v85, 0x5040100
	v_pk_fma_f16 v13, 0xbbc4, v13, v17 op_sel:[0,0,1] op_sel_hi:[0,1,0]
	v_add_f16_e32 v17, v74, v18
	v_pk_add_f16 v18, v21, v32
	v_pk_add_f16 v32, v26, v6
	;; [unrolled: 1-line block ×4, first 2 shown]
	v_pk_fma_f16 v1, 0x3b15, v14, v30 op_sel:[0,0,1] op_sel_hi:[0,1,0]
	v_fma_f16 v41, v58, 0xb9fd, -v51
	v_fmac_f16_e32 v51, 0xb9fd, v58
	v_fmac_f16_e32 v46, 0x2fb7, v58
	v_mul_f16_e32 v56, 0x3bf1, v64
	v_pk_add_f16 v0, v1, v0
	v_pk_fma_f16 v1, 0xb9fd, v15, v47 op_sel:[0,0,1] op_sel_hi:[0,1,0]
	v_add_f16_e32 v24, v51, v24
	v_mul_f16_e32 v51, 0x33a8, v64
	v_mul_f16_e32 v64, 0x3770, v64
	v_fmac_f16_e32 v93, 0xbbc4, v83
	v_pk_add_f16 v0, v1, v0
	v_pk_fma_f16 v1, 0x388b, v58, v49 op_sel:[0,0,1] op_sel_hi:[0,1,0]
	v_add_f16_e32 v37, v41, v37
	v_fma_f16 v41, v70, 0x2fb7, -v56
	v_fmac_f16_e32 v56, 0x2fb7, v70
	v_fmac_f16_e32 v67, 0x388b, v70
	v_fma_f16 v57, v70, 0xbbc4, -v51
	v_fmac_f16_e32 v51, 0xbbc4, v70
	v_add_f16_e32 v27, v68, v27
	v_fma_f16 v68, v70, 0x3b15, -v64
	v_fmac_f16_e32 v64, 0x3b15, v70
	v_mul_f16_e32 v60, 0x3770, v61
	v_add_f16_e32 v16, v46, v44
	v_mul_f16_e32 v44, 0xb94e, v61
	v_mul_f16_e32 v46, 0x3a95, v61
	;; [unrolled: 1-line block ×3, first 2 shown]
	v_add_f16_e32 v14, v93, v2
	v_pk_add_f16 v0, v1, v0
	v_pk_fma_f16 v1, 0xb5ac, v70, v43 op_sel:[0,0,1] op_sel_hi:[0,1,0]
	v_pk_mul_f16 v2, 0x3bf1, v84 op_sel_hi:[0,1]
	v_fma_f16 v20, v83, 0x3b15, -v60
	v_fmac_f16_e32 v60, 0x3b15, v83
	v_fma_f16 v55, v83, 0xb9fd, -v44
	v_fmac_f16_e32 v44, 0xb9fd, v83
	;; [unrolled: 2-line block ×4, first 2 shown]
	v_add_f16_e32 v23, v75, v23
	v_add_f16_e32 v29, v41, v37
	;; [unrolled: 1-line block ×13, first 2 shown]
	v_pk_add_f16 v0, v1, v0
	v_pk_fma_f16 v1, 0x2fb7, v83, v2 op_sel:[0,0,1] op_sel_hi:[0,1,0]
	v_pk_fma_f16 v2, 0x2fb7, v83, v2 op_sel:[0,0,1] op_sel_hi:[0,1,0] neg_lo:[0,0,1] neg_hi:[0,0,1]
	v_add_f16_e32 v33, v87, v23
	v_add_f16_e32 v12, v20, v29
	v_add_f16_e32 v35, v11, v25
	v_add_f16_e32 v21, v60, v24
	v_add_f16_e32 v34, v10, v34
	v_add_f16_e32 v13, v55, v36
	v_add_f16_e32 v37, v91, v27
	v_add_f16_e32 v20, v44, v41
	v_add_f16_e32 v36, v89, v28
	v_add_f16_e32 v22, v22, v42
	v_add_f16_e32 v57, v92, v31
	v_add_f16_e32 v25, v46, v16
	v_add_f16_e32 v56, v90, v45
	v_add_f16_e32 v23, v7, v5
	v_add_f16_e32 v60, v9, v4
	v_add_f16_e32 v24, v61, v3
	v_add_f16_e32 v58, v8, v17
	v_pk_add_f16 v27, v1, v0
	v_pk_add_f16 v61, v2, v18
	v_mul_lo_u16 v48, v40, 13
	global_wb scope:SCOPE_SE
	s_barrier_signal -1
	s_barrier_wait -1
	global_inv scope:SCOPE_SE
	s_and_saveexec_b32 s2, vcc_lo
	s_cbranch_execz .LBB0_7
; %bb.6:
	v_and_b32_e32 v0, 0xffff, v48
	v_alignbit_b32 v1, v26, v32, 16
	v_alignbit_b32 v2, v32, v26, 16
	v_perm_b32 v3, v37, v13, 0x5040100
	v_perm_b32 v4, v35, v12, 0x5040100
	v_lshlrev_b32_e32 v0, 2, v0
	v_perm_b32 v5, v60, v23, 0x5040100
	v_perm_b32 v6, v57, v22, 0x5040100
	v_bfi_b32 v7, 0xffff, v27, v61
	v_bfi_b32 v8, 0xffff, v61, v27
	v_perm_b32 v9, v56, v25, 0x5040100
	v_perm_b32 v10, v58, v24, 0x5040100
	;; [unrolled: 1-line block ×5, first 2 shown]
	ds_store_2addr_b32 v0, v2, v1 offset1:1
	ds_store_2addr_b32 v0, v4, v3 offset0:2 offset1:3
	ds_store_2addr_b32 v0, v6, v5 offset0:4 offset1:5
	;; [unrolled: 1-line block ×5, first 2 shown]
	ds_store_b32 v0, v16 offset:48
.LBB0_7:
	s_wait_alu 0xfffe
	s_or_b32 exec_lo, exec_lo, s2
	s_clause 0x1
	s_load_b64 s[6:7], s[0:1], 0x20
	s_load_b64 s[2:3], s[0:1], 0x8
	v_cmp_gt_u16_e64 s0, 0x41, v40
	v_lshrrev_b32_e32 v29, 16, v32
	v_lshrrev_b32_e32 v65, 16, v27
	global_wb scope:SCOPE_SE
	s_wait_dscnt 0x0
	s_wait_kmcnt 0x0
	s_barrier_signal -1
	s_barrier_wait -1
	global_inv scope:SCOPE_SE
                                        ; implicit-def: $vgpr31
                                        ; implicit-def: $vgpr63
                                        ; implicit-def: $vgpr64
                                        ; implicit-def: $vgpr66
	s_and_saveexec_b32 s1, s0
	s_cbranch_execz .LBB0_9
; %bb.8:
	v_add_nc_u32_e32 v0, 0x400, v38
	v_add_nc_u32_e32 v1, 0x800, v38
	;; [unrolled: 1-line block ×3, first 2 shown]
	ds_load_2addr_b32 v[28:29], v38 offset1:65
	ds_load_2addr_b32 v[12:13], v38 offset0:130 offset1:195
	ds_load_2addr_b32 v[22:23], v0 offset0:4 offset1:69
	ds_load_2addr_b32 v[26:27], v0 offset0:134 offset1:199
	ds_load_2addr_b32 v[24:25], v1 offset0:8 offset1:73
	ds_load_2addr_b32 v[20:21], v1 offset0:138 offset1:203
	ds_load_2addr_b32 v[14:15], v2 offset0:12 offset1:77
	ds_load_2addr_b32 v[30:31], v2 offset0:142 offset1:207
	s_wait_dscnt 0x7
	v_lshrrev_b32_e32 v32, 16, v28
	s_wait_dscnt 0x6
	v_lshrrev_b32_e32 v35, 16, v12
	v_lshrrev_b32_e32 v37, 16, v13
	s_wait_dscnt 0x5
	v_lshrrev_b32_e32 v57, 16, v22
	;; [unrolled: 3-line block ×3, first 2 shown]
	s_wait_dscnt 0x3
	v_lshrrev_b32_e32 v58, 16, v24
	v_lshrrev_b32_e32 v56, 16, v25
	s_wait_dscnt 0x2
	v_lshrrev_b32_e32 v36, 16, v20
	v_lshrrev_b32_e32 v34, 16, v21
	;; [unrolled: 3-line block ×4, first 2 shown]
	v_bfi_b32 v61, 0xffff, v26, v27
	v_alignbit_b32 v26, v28, v29, 16
.LBB0_9:
	s_wait_alu 0xfffe
	s_or_b32 exec_lo, exec_lo, s1
	v_and_b32_e32 v0, 0xff, v40
	v_lshrrev_b32_e32 v28, 16, v61
	v_lshrrev_b32_e32 v67, 16, v26
	s_delay_alu instid0(VALU_DEP_3) | instskip(NEXT) | instid1(VALU_DEP_1)
	v_mul_lo_u16 v0, 0x4f, v0
	v_lshrrev_b16 v71, 10, v0
	s_delay_alu instid0(VALU_DEP_1) | instskip(NEXT) | instid1(VALU_DEP_1)
	v_mul_lo_u16 v0, v71, 13
	v_sub_nc_u16 v0, v40, v0
	s_delay_alu instid0(VALU_DEP_1) | instskip(NEXT) | instid1(VALU_DEP_1)
	v_and_b32_e32 v41, 0xff, v0
	v_mad_co_u64_u32 v[16:17], null, v41, 60, s[2:3]
	s_clause 0x3
	global_load_b128 v[0:3], v[16:17], off
	global_load_b128 v[4:7], v[16:17], off offset:16
	global_load_b128 v[8:11], v[16:17], off offset:32
	global_load_b96 v[16:18], v[16:17], off offset:48
	global_wb scope:SCOPE_SE
	s_wait_loadcnt 0x0
	s_barrier_signal -1
	s_barrier_wait -1
	global_inv scope:SCOPE_SE
	v_lshrrev_b32_e32 v45, 16, v0
	v_lshrrev_b32_e32 v54, 16, v1
	;; [unrolled: 1-line block ×15, first 2 shown]
	v_mul_f16_e32 v68, v26, v45
	v_mul_f16_e32 v69, v29, v45
	v_mul_f16_e32 v70, v35, v54
	v_mul_f16_e32 v72, v12, v54
	v_mul_f16_e32 v73, v37, v50
	v_mul_f16_e32 v74, v13, v50
	v_mul_f16_e32 v75, v57, v42
	v_mul_f16_e32 v76, v22, v42
	v_mul_f16_e32 v77, v60, v47
	v_mul_f16_e32 v78, v23, v47
	v_mul_f16_e32 v79, v65, v59
	v_mul_f16_e32 v80, v61, v59
	v_mul_f16_e32 v81, v28, v52
	v_mul_f16_e32 v82, v27, v52
	v_mul_f16_e32 v83, v58, v43
	v_mul_f16_e32 v84, v24, v43
	v_mul_f16_e32 v85, v56, v46
	v_mul_f16_e32 v86, v25, v46
	v_mul_f16_e32 v87, v36, v55
	v_mul_f16_e32 v88, v20, v55
	v_mul_f16_e32 v89, v34, v51
	v_mul_f16_e32 v90, v21, v51
	v_mul_f16_e32 v91, v33, v44
	v_mul_f16_e32 v92, v14, v44
	v_mul_f16_e32 v93, v66, v49
	v_mul_f16_e32 v94, v15, v49
	v_mul_f16_e32 v95, v64, v62
	v_mul_f16_e32 v96, v30, v62
	v_mul_f16_e32 v97, v63, v53
	v_mul_f16_e32 v98, v31, v53
	v_fma_f16 v29, v29, v0, -v68
	v_fma_f16 v12, v12, v1, -v70
	;; [unrolled: 1-line block ×3, first 2 shown]
	v_fmac_f16_e32 v69, v26, v0
	v_fmac_f16_e32 v72, v35, v1
	;; [unrolled: 1-line block ×3, first 2 shown]
	v_fma_f16 v22, v22, v3, -v75
	v_fmac_f16_e32 v76, v57, v3
	v_fma_f16 v23, v23, v4, -v77
	v_fmac_f16_e32 v78, v60, v4
	;; [unrolled: 2-line block ×12, first 2 shown]
	v_sub_f16_e32 v24, v67, v24
	v_sub_f16_e32 v31, v32, v84
	;; [unrolled: 1-line block ×16, first 2 shown]
	v_fma_f16 v58, v67, 2.0, -v24
	v_fma_f16 v22, v22, 2.0, -v14
	;; [unrolled: 1-line block ×10, first 2 shown]
	v_sub_f16_e32 v68, v24, v33
	v_add_f16_e32 v69, v31, v14
	v_sub_f16_e32 v14, v20, v35
	v_add_f16_e32 v28, v34, v28
	;; [unrolled: 2-line block ×4, first 2 shown]
	v_fma_f16 v32, v32, 2.0, -v31
	v_fma_f16 v60, v76, 2.0, -v33
	;; [unrolled: 1-line block ×6, first 2 shown]
	v_sub_f16_e32 v22, v58, v22
	v_fma_f16 v24, v24, 2.0, -v68
	v_fma_f16 v31, v31, 2.0, -v69
	v_sub_f16_e32 v26, v12, v26
	v_sub_f16_e32 v33, v61, v63
	v_fma_f16 v20, v20, 2.0, -v14
	v_fma_f16 v34, v34, 2.0, -v28
	;; [unrolled: 1-line block ×6, first 2 shown]
	v_sub_f16_e32 v57, v32, v60
	v_sub_f16_e32 v23, v29, v23
	;; [unrolled: 1-line block ×5, first 2 shown]
	v_fmamk_f16 v72, v14, 0x39a8, v68
	v_fmamk_f16 v75, v28, 0x39a8, v69
	;; [unrolled: 1-line block ×4, first 2 shown]
	v_fma_f16 v58, v58, 2.0, -v22
	v_fma_f16 v12, v12, 2.0, -v26
	v_fmamk_f16 v77, v20, 0xb9a8, v24
	v_fmamk_f16 v78, v34, 0xb9a8, v31
	;; [unrolled: 1-line block ×4, first 2 shown]
	v_fma_f16 v32, v32, 2.0, -v57
	v_fma_f16 v61, v61, 2.0, -v33
	;; [unrolled: 1-line block ×6, first 2 shown]
	v_sub_f16_e32 v66, v22, v33
	v_add_f16_e32 v79, v57, v26
	v_fmac_f16_e32 v72, 0xb9a8, v28
	v_fmac_f16_e32 v75, 0x39a8, v14
	v_sub_f16_e32 v26, v23, v36
	v_add_f16_e32 v27, v60, v27
	v_fmac_f16_e32 v67, 0xb9a8, v30
	v_fmac_f16_e32 v76, 0x39a8, v15
	v_sub_f16_e32 v28, v58, v12
	v_fmac_f16_e32 v77, 0xb9a8, v34
	v_fmac_f16_e32 v78, 0x39a8, v20
	;; [unrolled: 1-line block ×4, first 2 shown]
	v_sub_f16_e32 v33, v32, v61
	v_fma_f16 v14, v22, 2.0, -v66
	v_fma_f16 v12, v57, 2.0, -v79
	;; [unrolled: 1-line block ×4, first 2 shown]
	v_sub_f16_e32 v20, v29, v64
	v_sub_f16_e32 v30, v70, v65
	v_fma_f16 v56, v23, 2.0, -v26
	v_fma_f16 v57, v60, 2.0, -v27
	;; [unrolled: 1-line block ×4, first 2 shown]
	v_fmamk_f16 v22, v26, 0x39a8, v66
	v_fmamk_f16 v65, v27, 0x39a8, v79
	;; [unrolled: 1-line block ×4, first 2 shown]
	v_fma_f16 v35, v58, 2.0, -v28
	v_fma_f16 v37, v24, 2.0, -v77
	v_fma_f16 v36, v31, 2.0, -v78
	v_fma_f16 v58, v25, 2.0, -v80
	v_fma_f16 v68, v63, 2.0, -v81
	v_fmamk_f16 v21, v80, 0x361f, v77
	v_fmamk_f16 v63, v81, 0x361f, v78
	v_fma_f16 v34, v32, 2.0, -v33
	v_fma_f16 v24, v29, 2.0, -v20
	v_fma_f16 v29, v70, 2.0, -v30
	v_fmamk_f16 v31, v56, 0xb9a8, v14
	v_fmamk_f16 v70, v57, 0xb9a8, v12
	;; [unrolled: 1-line block ×4, first 2 shown]
	v_fmac_f16_e32 v22, 0xb9a8, v27
	v_fmac_f16_e32 v65, 0x39a8, v26
	;; [unrolled: 1-line block ×4, first 2 shown]
	v_fmamk_f16 v27, v58, 0xbb64, v37
	v_fmamk_f16 v69, v68, 0xbb64, v36
	v_fmac_f16_e32 v21, 0xbb64, v81
	v_fmac_f16_e32 v63, 0x3b64, v80
	v_sub_f16_e32 v30, v28, v30
	v_add_f16_e32 v74, v33, v20
	v_sub_f16_e32 v26, v35, v24
	v_sub_f16_e32 v67, v34, v29
	v_fmac_f16_e32 v31, 0xb9a8, v57
	v_fmac_f16_e32 v70, 0x39a8, v56
	v_fmac_f16_e32 v32, 0xbb64, v61
	v_fmac_f16_e32 v73, 0x3b64, v60
	v_fma_f16 v24, v66, 2.0, -v22
	v_fma_f16 v20, v79, 2.0, -v65
	;; [unrolled: 1-line block ×4, first 2 shown]
	v_fmac_f16_e32 v27, 0xb61f, v68
	v_fmac_f16_e32 v69, 0x361f, v58
	v_fma_f16 v29, v77, 2.0, -v21
	v_fma_f16 v68, v78, 2.0, -v63
	v_and_b32_e32 v56, 0xffff, v71
	s_and_saveexec_b32 s1, s0
	s_cbranch_execz .LBB0_11
; %bb.10:
	s_delay_alu instid0(VALU_DEP_1)
	v_mul_u32_u24_e32 v57, 0xd0, v56
	v_fma_f16 v37, v37, 2.0, -v27
	v_fma_f16 v35, v35, 2.0, -v26
	v_fma_f16 v34, v34, 2.0, -v67
	v_fma_f16 v36, v36, 2.0, -v69
	v_or_b32_e32 v57, v57, v41
	v_fma_f16 v15, v15, 2.0, -v32
	v_fma_f16 v14, v14, 2.0, -v31
	;; [unrolled: 1-line block ×6, first 2 shown]
	v_lshlrev_b32_e32 v57, 2, v57
	v_pack_b32_f16 v34, v35, v34
	v_pack_b32_f16 v35, v37, v36
	;; [unrolled: 1-line block ×5, first 2 shown]
	v_perm_b32 v15, v68, v29, 0x5040100
	ds_store_2addr_b32 v57, v34, v35 offset1:13
	ds_store_2addr_b32 v57, v12, v13 offset0:26 offset1:39
	ds_store_2addr_b32 v57, v14, v15 offset0:52 offset1:65
	v_perm_b32 v12, v20, v24, 0x5040100
	v_perm_b32 v13, v66, v25, 0x5040100
	;; [unrolled: 1-line block ×10, first 2 shown]
	ds_store_2addr_b32 v57, v12, v13 offset0:78 offset1:91
	ds_store_2addr_b32 v57, v14, v15 offset0:104 offset1:117
	;; [unrolled: 1-line block ×5, first 2 shown]
.LBB0_11:
	s_wait_alu 0xfffe
	s_or_b32 exec_lo, exec_lo, s1
	v_lshlrev_b32_e32 v12, 4, v40
	s_load_b128 s[20:23], s[6:7], 0x0
	global_wb scope:SCOPE_SE
	s_wait_dscnt 0x0
	s_wait_kmcnt 0x0
	s_barrier_signal -1
	s_barrier_wait -1
	global_inv scope:SCOPE_SE
	global_load_b128 v[12:15], v12, s[2:3] offset:780
	v_add_nc_u32_e32 v37, 0x600, v38
	ds_load_2addr_b32 v[33:34], v38 offset1:208
	ds_load_b32 v28, v38 offset:3328
	ds_load_2addr_b32 v[35:36], v37 offset0:32 offset1:240
	s_wait_dscnt 0x2
	v_lshrrev_b32_e32 v72, 16, v34
	s_wait_dscnt 0x1
	v_lshrrev_b32_e32 v75, 16, v28
	;; [unrolled: 2-line block ×3, first 2 shown]
	v_lshrrev_b32_e32 v77, 16, v36
	v_lshrrev_b32_e32 v71, 16, v33
	s_wait_loadcnt 0x0
	v_lshrrev_b32_e32 v60, 16, v12
	v_lshrrev_b32_e32 v58, 16, v13
	;; [unrolled: 1-line block ×4, first 2 shown]
	s_delay_alu instid0(VALU_DEP_4) | instskip(NEXT) | instid1(VALU_DEP_4)
	v_mul_f16_e32 v78, v72, v60
	v_mul_f16_e32 v80, v76, v58
	;; [unrolled: 1-line block ×8, first 2 shown]
	v_fma_f16 v34, v34, v12, -v78
	v_fma_f16 v35, v35, v13, -v80
	v_fmac_f16_e32 v81, v76, v13
	v_fma_f16 v36, v36, v14, -v82
	v_fmac_f16_e32 v83, v77, v14
	v_fmac_f16_e32 v79, v72, v12
	;; [unrolled: 1-line block ×3, first 2 shown]
	v_fma_f16 v75, v28, v15, -v84
	v_add_f16_e32 v28, v33, v34
	v_add_f16_e32 v72, v35, v36
	;; [unrolled: 1-line block ×3, first 2 shown]
	v_sub_f16_e32 v76, v34, v35
	v_sub_f16_e32 v77, v75, v36
	v_add_f16_e32 v82, v34, v75
	v_add_f16_e32 v87, v71, v79
	;; [unrolled: 1-line block ×3, first 2 shown]
	v_sub_f16_e32 v78, v79, v85
	v_sub_f16_e32 v84, v35, v34
	;; [unrolled: 1-line block ×6, first 2 shown]
	v_add_f16_e32 v35, v28, v35
	v_fma_f16 v28, -0.5, v72, v33
	v_fma_f16 v72, -0.5, v88, v71
	v_sub_f16_e32 v80, v81, v83
	v_add_f16_e32 v94, v76, v77
	v_fmac_f16_e32 v33, -0.5, v82
	v_add_f16_e32 v76, v87, v81
	v_fmac_f16_e32 v71, -0.5, v92
	v_sub_f16_e32 v79, v81, v79
	v_add_f16_e32 v81, v34, v91
	v_add_f16_e32 v34, v35, v36
	v_fmamk_f16 v35, v78, 0x3b9c, v28
	v_fmamk_f16 v77, v89, 0xbb9c, v72
	v_sub_f16_e32 v86, v36, v75
	v_sub_f16_e32 v93, v83, v85
	v_fmamk_f16 v36, v80, 0xbb9c, v33
	v_fmac_f16_e32 v33, 0x3b9c, v80
	v_add_f16_e32 v83, v76, v83
	v_fmamk_f16 v76, v90, 0x3b9c, v71
	v_fmac_f16_e32 v71, 0xbb9c, v90
	v_fmac_f16_e32 v28, 0xbb9c, v78
	;; [unrolled: 1-line block ×5, first 2 shown]
	v_add_f16_e32 v82, v84, v86
	v_add_f16_e32 v79, v79, v93
	v_fmac_f16_e32 v36, 0x38b4, v78
	v_fmac_f16_e32 v33, 0xb8b4, v78
	;; [unrolled: 1-line block ×6, first 2 shown]
	v_add_f16_e32 v34, v34, v75
	v_add_f16_e32 v75, v83, v85
	v_fmac_f16_e32 v35, 0x34f2, v94
	v_fmac_f16_e32 v77, 0x34f2, v81
	;; [unrolled: 1-line block ×8, first 2 shown]
	v_pack_b32_f16 v78, v34, v75
	v_pack_b32_f16 v79, v35, v77
	;; [unrolled: 1-line block ×5, first 2 shown]
	ds_store_2addr_b32 v38, v78, v79 offset1:208
	ds_store_2addr_b32 v37, v80, v81 offset0:32 offset1:240
	ds_store_b32 v38, v82 offset:3328
	global_wb scope:SCOPE_SE
	s_wait_dscnt 0x0
	s_barrier_signal -1
	s_barrier_wait -1
	global_inv scope:SCOPE_SE
	s_and_saveexec_b32 s1, vcc_lo
	s_cbranch_execz .LBB0_13
; %bb.12:
	global_load_b32 v37, v38, s[24:25] offset:4160
	s_add_nc_u64 s[2:3], s[24:25], 0x1040
	s_clause 0xb
	global_load_b32 v90, v38, s[2:3] offset:320
	global_load_b32 v91, v38, s[2:3] offset:640
	;; [unrolled: 1-line block ×12, first 2 shown]
	ds_load_b32 v78, v38
	v_add_nc_u32_e32 v102, 0x200, v38
	v_add_nc_u32_e32 v103, 0x400, v38
	;; [unrolled: 1-line block ×4, first 2 shown]
	s_wait_dscnt 0x0
	v_lshrrev_b32_e32 v79, 16, v78
	s_wait_loadcnt 0xb
	v_lshrrev_b32_e32 v106, 16, v90
	s_wait_loadcnt 0xa
	;; [unrolled: 2-line block ×8, first 2 shown]
	v_lshrrev_b32_e32 v113, 16, v97
	v_lshrrev_b32_e32 v80, 16, v37
	s_wait_loadcnt 0x3
	v_lshrrev_b32_e32 v114, 16, v98
	s_wait_loadcnt 0x2
	;; [unrolled: 2-line block ×4, first 2 shown]
	v_lshrrev_b32_e32 v117, 16, v101
	v_mul_f16_e32 v81, v79, v80
	v_mul_f16_e32 v80, v78, v80
	s_delay_alu instid0(VALU_DEP_2) | instskip(NEXT) | instid1(VALU_DEP_2)
	v_fma_f16 v78, v78, v37, -v81
	v_fmac_f16_e32 v80, v79, v37
	s_delay_alu instid0(VALU_DEP_1)
	v_pack_b32_f16 v37, v78, v80
	ds_store_b32 v38, v37
	v_add_nc_u32_e32 v37, 0xa00, v38
	ds_load_2addr_b32 v[78:79], v38 offset0:80 offset1:160
	ds_load_2addr_b32 v[80:81], v102 offset0:112 offset1:192
	;; [unrolled: 1-line block ×6, first 2 shown]
	s_wait_dscnt 0x5
	v_lshrrev_b32_e32 v118, 16, v78
	v_lshrrev_b32_e32 v120, 16, v79
	s_wait_dscnt 0x4
	v_lshrrev_b32_e32 v122, 16, v80
	v_lshrrev_b32_e32 v124, 16, v81
	;; [unrolled: 3-line block ×5, first 2 shown]
	v_mul_f16_e32 v119, v78, v106
	v_mul_f16_e32 v121, v79, v107
	s_wait_dscnt 0x0
	v_lshrrev_b32_e32 v138, 16, v88
	v_lshrrev_b32_e32 v140, 16, v89
	v_mul_f16_e32 v106, v118, v106
	v_mul_f16_e32 v107, v120, v107
	;; [unrolled: 1-line block ×7, first 2 shown]
	v_mul_f16_e64 v129, v83, v111
	v_mul_f16_e32 v110, v126, v110
	v_mul_f16_e64 v111, v128, v111
	v_mul_f16_e64 v131, v84, v112
	;; [unrolled: 1-line block ×11, first 2 shown]
	v_fmac_f16_e32 v119, v118, v90
	v_fmac_f16_e32 v121, v120, v91
	v_mul_f16_e64 v116, v138, v116
	v_mul_f16_e64 v117, v140, v117
	v_fma_f16 v78, v78, v90, -v106
	v_fma_f16 v79, v79, v91, -v107
	v_fmac_f16_e32 v123, v122, v92
	v_fmac_f16_e32 v125, v124, v93
	v_fma_f16 v80, v80, v92, -v108
	v_fma_f16 v81, v81, v93, -v109
	v_fmac_f16_e32 v127, v126, v94
	v_fmac_f16_e64 v129, v128, v95
	v_fma_f16 v82, v82, v94, -v110
	v_fma_f16 v83, v83, v95, -v111
	v_fmac_f16_e64 v131, v130, v96
	v_fmac_f16_e64 v133, v132, v97
	v_fma_f16 v84, v84, v96, -v112
	v_fma_f16 v85, v85, v97, -v113
	v_fmac_f16_e64 v135, v134, v98
	v_fmac_f16_e64 v137, v136, v99
	v_fma_f16 v86, v86, v98, -v114
	v_fma_f16 v87, v87, v99, -v115
	v_fmac_f16_e64 v139, v138, v100
	v_fmac_f16_e64 v141, v140, v101
	v_fma_f16 v88, v88, v100, -v116
	v_fma_f16 v89, v89, v101, -v117
	v_pack_b32_f16 v78, v78, v119
	v_pack_b32_f16 v79, v79, v121
	;; [unrolled: 1-line block ×12, first 2 shown]
	ds_store_2addr_b32 v38, v78, v79 offset0:80 offset1:160
	ds_store_2addr_b32 v102, v80, v81 offset0:112 offset1:192
	;; [unrolled: 1-line block ×6, first 2 shown]
.LBB0_13:
	s_wait_alu 0xfffe
	s_or_b32 exec_lo, exec_lo, s1
	global_wb scope:SCOPE_SE
	s_wait_dscnt 0x0
	s_barrier_signal -1
	s_barrier_wait -1
	global_inv scope:SCOPE_SE
	s_and_saveexec_b32 s1, vcc_lo
	s_cbranch_execz .LBB0_15
; %bb.14:
	ds_load_2addr_b32 v[36:37], v38 offset0:160 offset1:240
	v_add_nc_u32_e32 v20, 0x400, v38
	v_add_nc_u32_e32 v24, 0x600, v38
	;; [unrolled: 1-line block ×3, first 2 shown]
	ds_load_2addr_b32 v[34:35], v38 offset1:80
	s_wait_dscnt 0x1
	v_mov_b32_e32 v33, v37
	ds_load_b32 v30, v38 offset:3840
	ds_load_2addr_b32 v[28:29], v20 offset0:64 offset1:144
	v_add_nc_u32_e32 v20, 0xc00, v38
	ds_load_2addr_b32 v[24:25], v24 offset0:96 offset1:176
	ds_load_2addr_b32 v[26:27], v26 offset0:128 offset1:208
	;; [unrolled: 1-line block ×3, first 2 shown]
	s_wait_dscnt 0x5
	v_lshrrev_b32_e32 v75, 16, v34
	v_lshrrev_b32_e32 v77, 16, v35
	;; [unrolled: 1-line block ×4, first 2 shown]
	s_wait_dscnt 0x4
	v_lshrrev_b32_e32 v74, 16, v30
	s_wait_dscnt 0x3
	v_lshrrev_b32_e32 v72, 16, v28
	v_lshrrev_b32_e32 v68, 16, v29
	s_wait_dscnt 0x2
	v_lshrrev_b32_e32 v20, 16, v24
	;; [unrolled: 3-line block ×4, first 2 shown]
	v_lshrrev_b32_e32 v73, 16, v32
.LBB0_15:
	s_wait_alu 0xfffe
	s_or_b32 exec_lo, exec_lo, s1
	v_add_f16_e32 v37, v35, v34
	v_add_f16_e32 v78, v77, v75
	v_sub_f16_e32 v80, v77, v74
	v_add_f16_e32 v79, v30, v35
	v_add_f16_e32 v77, v74, v77
	;; [unrolled: 1-line block ×4, first 2 shown]
	v_mul_f16_e32 v81, 0xb770, v80
	v_sub_f16_e32 v100, v76, v73
	v_sub_f16_e32 v35, v35, v30
	v_add_f16_e32 v37, v33, v37
	v_add_f16_e32 v78, v71, v78
	v_mul_f16_e32 v82, 0x3b15, v77
	v_mul_f16_e32 v83, 0xba95, v80
	;; [unrolled: 1-line block ×3, first 2 shown]
	v_add_f16_e32 v37, v28, v37
	v_add_f16_e32 v78, v72, v78
	v_mul_f16_e32 v85, 0xbbf1, v80
	v_mul_f16_e32 v86, 0x2fb7, v77
	;; [unrolled: 1-line block ×3, first 2 shown]
	v_add_f16_e32 v37, v29, v37
	v_add_f16_e32 v78, v68, v78
	v_fmamk_f16 v88, v79, 0x3b15, v81
	v_mul_f16_e32 v95, 0xb94e, v80
	v_mul_f16_e32 v96, 0xb9fd, v77
	v_add_f16_e32 v37, v24, v37
	v_add_f16_e32 v78, v20, v78
	v_mul_f16_e32 v80, 0xb3a8, v80
	v_add_f16_e32 v102, v32, v36
	v_mul_f16_e32 v103, 0xba95, v100
	v_add_f16_e32 v37, v25, v37
	v_add_f16_e32 v78, v66, v78
	v_fmamk_f16 v89, v35, 0x3770, v82
	v_fma_f16 v81, v79, 0x3b15, -v81
	v_fmac_f16_e32 v82, 0xb770, v35
	v_add_f16_e32 v37, v26, v37
	v_add_f16_e32 v78, v67, v78
	v_fmamk_f16 v90, v79, 0x388b, v83
	v_fmamk_f16 v91, v35, 0x3a95, v84
	v_fma_f16 v83, v79, 0x388b, -v83
	v_add_f16_e32 v37, v27, v37
	v_add_f16_e32 v78, v69, v78
	v_fmac_f16_e32 v84, 0xba95, v35
	v_fmamk_f16 v92, v79, 0x2fb7, v85
	v_fmamk_f16 v93, v35, 0x3bf1, v86
	v_add_f16_e32 v37, v31, v37
	v_add_f16_e32 v78, v70, v78
	v_fma_f16 v85, v79, 0x2fb7, -v85
	v_fmac_f16_e32 v86, 0xbbf1, v35
	v_add_f16_e32 v88, v34, v88
	v_add_f16_e32 v37, v32, v37
	;; [unrolled: 1-line block ×4, first 2 shown]
	v_fmamk_f16 v97, v79, 0xb9fd, v95
	v_fmamk_f16 v98, v35, 0x394e, v96
	v_add_f16_e32 v30, v30, v37
	v_add_f16_e32 v37, v74, v78
	v_mul_f16_e32 v78, 0xb5ac, v77
	v_mul_f16_e32 v77, 0xbbc4, v77
	v_fmamk_f16 v74, v79, 0xb5ac, v87
	v_fma_f16 v87, v79, 0xb5ac, -v87
	v_fma_f16 v95, v79, 0xb9fd, -v95
	v_fmamk_f16 v94, v35, 0x3b7b, v78
	v_fmac_f16_e32 v78, 0xbb7b, v35
	v_fmac_f16_e32 v96, 0xb94e, v35
	v_fmamk_f16 v99, v79, 0xbbc4, v80
	v_fmamk_f16 v101, v35, 0x33a8, v77
	v_fma_f16 v76, v79, 0xbbc4, -v80
	v_fmac_f16_e32 v77, 0xb3a8, v35
	v_sub_f16_e32 v32, v36, v32
	v_fmamk_f16 v35, v102, 0x388b, v103
	v_mul_f16_e32 v36, 0x388b, v73
	v_add_f16_e32 v89, v75, v89
	v_add_f16_e32 v81, v34, v81
	;; [unrolled: 1-line block ×24, first 2 shown]
	v_fmamk_f16 v76, v32, 0x3a95, v36
	v_mul_f16_e32 v77, 0xbb7b, v100
	v_fma_f16 v80, v102, 0x388b, -v103
	v_fmac_f16_e32 v36, 0xba95, v32
	v_mul_f16_e32 v88, 0xb5ac, v73
	v_add_f16_e32 v76, v76, v89
	v_fmamk_f16 v89, v102, 0xb5ac, v77
	v_add_f16_e32 v80, v80, v81
	v_add_f16_e32 v36, v36, v82
	v_fmamk_f16 v81, v32, 0x3b7b, v88
	v_mul_f16_e32 v82, 0xb3a8, v100
	v_add_f16_e32 v89, v89, v90
	v_fma_f16 v77, v102, 0xb5ac, -v77
	v_fmac_f16_e32 v88, 0xbb7b, v32
	v_add_f16_e32 v81, v81, v91
	v_fmamk_f16 v90, v102, 0xbbc4, v82
	v_mul_f16_e32 v91, 0xbbc4, v73
	v_add_f16_e32 v77, v77, v83
	v_add_f16_e32 v83, v88, v84
	v_mul_f16_e32 v84, 0x394e, v100
	v_add_f16_e32 v88, v90, v92
	v_fmamk_f16 v90, v32, 0x33a8, v91
	v_fma_f16 v82, v102, 0xbbc4, -v82
	v_fmac_f16_e32 v91, 0xb3a8, v32
	v_mul_f16_e32 v101, 0xb9fd, v73
	v_fmamk_f16 v92, v102, 0xb9fd, v84
	v_add_f16_e32 v90, v90, v93
	v_add_f16_e32 v82, v82, v85
	;; [unrolled: 1-line block ×3, first 2 shown]
	v_fmamk_f16 v86, v32, 0xb94e, v101
	v_mul_f16_e32 v91, 0x3bf1, v100
	v_add_f16_e32 v74, v92, v74
	v_fma_f16 v84, v102, 0xb9fd, -v84
	v_mul_f16_e32 v92, 0x2fb7, v73
	v_add_f16_e32 v86, v86, v94
	v_fmamk_f16 v93, v102, 0x2fb7, v91
	v_mul_f16_e32 v94, 0x3770, v100
	v_fma_f16 v91, v102, 0x2fb7, -v91
	v_add_f16_e32 v84, v84, v87
	v_fmamk_f16 v87, v32, 0xbbf1, v92
	v_add_f16_e32 v93, v93, v97
	v_fmac_f16_e32 v92, 0x3bf1, v32
	v_fmamk_f16 v97, v102, 0x3b15, v94
	v_add_f16_e32 v91, v91, v95
	v_sub_f16_e32 v95, v71, v70
	v_add_f16_e32 v87, v87, v98
	v_mul_f16_e32 v73, 0x3b15, v73
	v_add_f16_e32 v92, v92, v96
	v_add_f16_e32 v96, v97, v99
	;; [unrolled: 1-line block ×3, first 2 shown]
	v_mul_f16_e32 v99, 0xbbf1, v95
	v_add_f16_e32 v70, v70, v71
	v_fmac_f16_e32 v101, 0x394e, v32
	v_fmamk_f16 v97, v32, 0xb770, v73
	v_fma_f16 v71, v102, 0x3b15, -v94
	v_fmac_f16_e32 v73, 0x3770, v32
	v_sub_f16_e32 v31, v33, v31
	v_fmamk_f16 v32, v98, 0x2fb7, v99
	v_mul_f16_e32 v33, 0x2fb7, v70
	v_add_f16_e32 v34, v71, v34
	v_add_f16_e32 v71, v73, v75
	v_mul_f16_e32 v73, 0xb3a8, v95
	v_add_f16_e32 v32, v32, v35
	v_fmamk_f16 v35, v31, 0x3bf1, v33
	v_fma_f16 v75, v98, 0x2fb7, -v99
	v_fmac_f16_e32 v33, 0xbbf1, v31
	v_mul_f16_e32 v94, 0xbbc4, v70
	v_add_f16_e32 v79, v97, v79
	v_add_f16_e32 v35, v35, v76
	v_fmamk_f16 v76, v98, 0xbbc4, v73
	v_add_f16_e32 v75, v75, v80
	v_add_f16_e32 v33, v33, v36
	v_fmamk_f16 v36, v31, 0x33a8, v94
	v_mul_f16_e32 v80, 0x3b7b, v95
	v_add_f16_e32 v76, v76, v89
	v_mul_f16_e32 v89, 0xb5ac, v70
	v_mul_f16_e32 v97, 0x3b15, v70
	v_add_f16_e32 v36, v36, v81
	v_fmamk_f16 v81, v98, 0xb5ac, v80
	v_fma_f16 v80, v98, 0xb5ac, -v80
	v_fma_f16 v73, v98, 0xbbc4, -v73
	v_fmac_f16_e32 v94, 0xb3a8, v31
	v_add_f16_e32 v78, v101, v78
	v_add_f16_e32 v81, v81, v88
	v_fmamk_f16 v88, v31, 0xbb7b, v89
	v_fmac_f16_e32 v89, 0x3b7b, v31
	v_add_f16_e32 v80, v80, v82
	v_add_f16_e32 v73, v73, v77
	;; [unrolled: 1-line block ×3, first 2 shown]
	v_mul_f16_e32 v83, 0x3770, v95
	v_add_f16_e32 v82, v89, v85
	v_fmamk_f16 v85, v31, 0xb770, v97
	v_mul_f16_e32 v89, 0xba95, v95
	v_add_f16_e32 v88, v88, v90
	v_fmamk_f16 v94, v98, 0x3b15, v83
	v_fma_f16 v83, v98, 0x3b15, -v83
	v_add_f16_e32 v85, v85, v86
	v_fmamk_f16 v86, v98, 0x388b, v89
	v_fma_f16 v89, v98, 0x388b, -v89
	v_mul_f16_e32 v90, 0x388b, v70
	v_add_f16_e32 v74, v94, v74
	v_add_f16_e32 v83, v83, v84
	v_mul_f16_e32 v94, 0xb94e, v95
	v_add_f16_e32 v89, v89, v91
	v_sub_f16_e32 v91, v72, v69
	v_fmamk_f16 v84, v31, 0x3a95, v90
	v_add_f16_e32 v86, v86, v93
	v_fmac_f16_e32 v90, 0xba95, v31
	v_mul_f16_e32 v70, 0xb9fd, v70
	v_add_f16_e32 v93, v27, v28
	v_mul_f16_e32 v95, 0xbb7b, v91
	v_add_f16_e32 v69, v69, v72
	v_fmac_f16_e32 v97, 0x3770, v31
	v_add_f16_e32 v90, v90, v92
	v_fmamk_f16 v92, v31, 0x394e, v70
	v_fma_f16 v72, v98, 0xb9fd, -v94
	v_fmac_f16_e32 v70, 0xb94e, v31
	v_sub_f16_e32 v27, v28, v27
	v_fmamk_f16 v28, v93, 0xb5ac, v95
	v_mul_f16_e32 v31, 0xb5ac, v69
	v_add_f16_e32 v79, v92, v79
	v_add_f16_e32 v34, v72, v34
	v_add_f16_e32 v70, v70, v71
	v_add_f16_e32 v28, v28, v32
	v_fmamk_f16 v32, v27, 0x3b7b, v31
	v_mul_f16_e32 v71, 0x394e, v91
	v_fma_f16 v72, v93, 0xb5ac, -v95
	v_fmac_f16_e32 v31, 0xbb7b, v27
	v_mul_f16_e32 v92, 0xb9fd, v69
	v_add_f16_e32 v32, v32, v35
	v_fmamk_f16 v35, v93, 0xb9fd, v71
	v_add_f16_e32 v72, v72, v75
	v_add_f16_e32 v31, v31, v33
	v_fmamk_f16 v33, v27, 0xb94e, v92
	v_mul_f16_e32 v75, 0x3770, v91
	v_add_f16_e32 v35, v35, v76
	v_mul_f16_e32 v76, 0x3b15, v69
	v_add_f16_e32 v84, v84, v87
	v_add_f16_e32 v33, v33, v36
	v_fmamk_f16 v36, v93, 0x3b15, v75
	v_fmamk_f16 v87, v98, 0xb9fd, v94
	v_fma_f16 v71, v93, 0xb9fd, -v71
	v_fmac_f16_e32 v92, 0x394e, v27
	v_fma_f16 v75, v93, 0x3b15, -v75
	v_add_f16_e32 v36, v36, v81
	v_fmamk_f16 v81, v27, 0xb770, v76
	v_fmac_f16_e32 v76, 0x3770, v27
	v_mul_f16_e32 v94, 0x2fb7, v69
	v_add_f16_e32 v71, v71, v73
	v_add_f16_e32 v73, v92, v77
	v_mul_f16_e32 v77, 0xbbf1, v91
	v_add_f16_e32 v75, v75, v80
	v_add_f16_e32 v76, v76, v82
	v_fmamk_f16 v80, v27, 0x3bf1, v94
	v_mul_f16_e32 v82, 0x33a8, v91
	v_fmamk_f16 v92, v93, 0x2fb7, v77
	v_add_f16_e32 v81, v81, v88
	v_fma_f16 v77, v93, 0x2fb7, -v77
	v_mul_f16_e32 v88, 0xbbc4, v69
	v_add_f16_e32 v80, v80, v85
	v_fmamk_f16 v85, v93, 0xbbc4, v82
	v_mul_f16_e32 v91, 0x3a95, v91
	v_add_f16_e32 v77, v77, v83
	v_fmamk_f16 v83, v27, 0xb3a8, v88
	v_fma_f16 v82, v93, 0xbbc4, -v82
	v_add_f16_e32 v85, v85, v86
	v_fmac_f16_e32 v88, 0x33a8, v27
	v_sub_f16_e32 v86, v68, v67
	v_add_f16_e32 v87, v87, v96
	v_add_f16_e32 v83, v83, v84
	v_fmamk_f16 v84, v93, 0x388b, v91
	v_mul_f16_e32 v69, 0x388b, v69
	v_add_f16_e32 v82, v82, v89
	v_add_f16_e32 v88, v88, v90
	;; [unrolled: 1-line block ×3, first 2 shown]
	v_mul_f16_e32 v90, 0xb94e, v86
	v_add_f16_e32 v67, v67, v68
	v_fmac_f16_e32 v94, 0xbbf1, v27
	v_add_f16_e32 v84, v84, v87
	v_fmamk_f16 v87, v27, 0xba95, v69
	v_fma_f16 v68, v93, 0x388b, -v91
	v_fmac_f16_e32 v69, 0x3a95, v27
	v_sub_f16_e32 v26, v29, v26
	v_fmamk_f16 v27, v89, 0xb9fd, v90
	v_mul_f16_e32 v29, 0xb9fd, v67
	v_add_f16_e32 v34, v68, v34
	v_add_f16_e32 v68, v69, v70
	v_mul_f16_e32 v69, 0x3bf1, v86
	v_add_f16_e32 v27, v27, v28
	v_fmamk_f16 v28, v26, 0x394e, v29
	v_add_f16_e32 v79, v87, v79
	v_fma_f16 v70, v89, 0xb9fd, -v90
	v_fmac_f16_e32 v29, 0xb94e, v26
	v_mul_f16_e32 v87, 0x2fb7, v67
	v_add_f16_e32 v28, v28, v32
	v_fmamk_f16 v32, v89, 0x2fb7, v69
	v_add_f16_e32 v70, v70, v72
	v_add_f16_e32 v29, v29, v31
	v_fmamk_f16 v31, v26, 0xbbf1, v87
	v_mul_f16_e32 v72, 0xba95, v86
	v_add_f16_e32 v32, v32, v35
	v_fma_f16 v35, v89, 0x2fb7, -v69
	v_fmac_f16_e32 v87, 0x3bf1, v26
	v_add_f16_e32 v33, v31, v33
	v_fmamk_f16 v31, v89, 0x388b, v72
	v_mul_f16_e32 v69, 0x388b, v67
	v_add_f16_e32 v35, v35, v71
	v_add_f16_e32 v71, v87, v73
	v_mul_f16_e32 v73, 0x33a8, v86
	v_add_f16_e32 v74, v92, v74
	v_add_f16_e32 v87, v31, v36
	v_fmamk_f16 v31, v26, 0x3a95, v69
	v_fma_f16 v36, v89, 0x388b, -v72
	v_fmamk_f16 v72, v89, 0xbbc4, v73
	v_mul_f16_e32 v90, 0xbbc4, v67
	v_fmac_f16_e32 v69, 0xba95, v26
	v_add_f16_e32 v81, v31, v81
	v_add_f16_e32 v75, v36, v75
	;; [unrolled: 1-line block ×3, first 2 shown]
	v_fmamk_f16 v31, v26, 0xb3a8, v90
	v_mul_f16_e32 v36, 0x3770, v86
	v_fma_f16 v73, v89, 0xbbc4, -v73
	v_mul_f16_e32 v74, 0x3b15, v67
	v_add_f16_e32 v78, v97, v78
	v_add_f16_e32 v69, v69, v76
	;; [unrolled: 1-line block ×3, first 2 shown]
	v_fmamk_f16 v31, v89, 0x3b15, v36
	v_add_f16_e32 v73, v73, v77
	v_fmamk_f16 v77, v26, 0xb770, v74
	v_mul_f16_e32 v80, 0xbb7b, v86
	v_add_f16_e32 v78, v94, v78
	v_fmac_f16_e32 v90, 0x33a8, v26
	v_add_f16_e32 v85, v31, v85
	v_fma_f16 v31, v89, 0x3b15, -v36
	v_add_f16_e32 v77, v77, v83
	v_fmac_f16_e32 v74, 0x3770, v26
	v_fmamk_f16 v36, v89, 0xb5ac, v80
	v_sub_f16_e32 v83, v20, v66
	v_add_f16_e32 v78, v90, v78
	v_mul_f16_e32 v67, 0xb5ac, v67
	v_add_f16_e32 v86, v74, v88
	v_add_f16_e32 v84, v36, v84
	;; [unrolled: 1-line block ×3, first 2 shown]
	v_mul_f16_e32 v36, 0xb3a8, v83
	v_add_f16_e32 v90, v66, v20
	v_add_f16_e32 v82, v31, v82
	v_fmamk_f16 v31, v26, 0x3b7b, v67
	v_fma_f16 v20, v89, 0xb5ac, -v80
	v_sub_f16_e32 v80, v24, v25
	v_fmamk_f16 v24, v88, 0xbbc4, v36
	v_mul_f16_e32 v25, 0xbbc4, v90
	v_add_f16_e32 v79, v31, v79
	v_add_f16_e32 v89, v20, v34
	v_fmac_f16_e32 v67, 0xbb7b, v26
	v_add_f16_e32 v31, v24, v27
	v_fmamk_f16 v20, v80, 0x33a8, v25
	v_mul_f16_e32 v24, 0x3770, v83
	v_fmac_f16_e32 v25, 0xb3a8, v80
	v_mul_f16_e32 v27, 0x3b15, v90
	v_fma_f16 v26, v88, 0xbbc4, -v36
	v_add_f16_e32 v66, v20, v28
	v_fmamk_f16 v28, v88, 0x3b15, v24
	v_add_f16_e32 v36, v25, v29
	v_fmamk_f16 v25, v80, 0xb770, v27
	v_mul_f16_e32 v34, 0xb94e, v83
	v_add_f16_e32 v20, v26, v70
	v_add_f16_e32 v26, v28, v32
	v_fma_f16 v24, v88, 0x3b15, -v24
	v_fmac_f16_e32 v27, 0x3770, v80
	v_add_f16_e32 v74, v25, v33
	v_fmamk_f16 v25, v88, 0xb9fd, v34
	v_mul_f16_e32 v32, 0xb9fd, v90
	v_mul_f16_e32 v33, 0x3a95, v83
	v_add_f16_e32 v91, v67, v68
	v_add_f16_e32 v29, v24, v35
	;; [unrolled: 1-line block ×4, first 2 shown]
	v_fmamk_f16 v24, v80, 0x394e, v32
	v_fma_f16 v25, v88, 0xb9fd, -v34
	v_fmamk_f16 v34, v88, 0x388b, v33
	v_mul_f16_e32 v35, 0x388b, v90
	v_fmac_f16_e32 v32, 0xb94e, v80
	v_add_f16_e32 v70, v24, v81
	v_add_f16_e32 v28, v25, v75
	;; [unrolled: 1-line block ×3, first 2 shown]
	v_fmamk_f16 v25, v80, 0xba95, v35
	v_fma_f16 v33, v88, 0x388b, -v33
	v_fmac_f16_e32 v35, 0x3a95, v80
	v_mul_f16_e32 v34, 0xb5ac, v90
	v_add_f16_e32 v75, v32, v69
	v_mul_f16_e32 v32, 0xbb7b, v83
	v_add_f16_e32 v33, v33, v73
	v_add_f16_e32 v71, v35, v78
	v_fmamk_f16 v35, v80, 0x3b7b, v34
	v_mul_f16_e32 v69, 0x3bf1, v83
	v_mul_f16_e32 v73, 0x2fb7, v90
	v_add_f16_e32 v67, v25, v76
	v_fmamk_f16 v25, v88, 0xb5ac, v32
	v_fma_f16 v32, v88, 0xb5ac, -v32
	v_add_f16_e32 v72, v35, v77
	v_fmac_f16_e32 v34, 0xbb7b, v80
	v_fmamk_f16 v35, v88, 0x2fb7, v69
	v_fmamk_f16 v76, v80, 0xbbf1, v73
	v_fma_f16 v77, v88, 0x2fb7, -v69
	v_fmac_f16_e32 v73, 0x3bf1, v80
	v_add_f16_e32 v25, v25, v85
	v_add_f16_e32 v32, v32, v82
	;; [unrolled: 1-line block ×7, first 2 shown]
	global_wb scope:SCOPE_SE
	s_barrier_signal -1
	s_barrier_wait -1
	global_inv scope:SCOPE_SE
	s_and_saveexec_b32 s1, vcc_lo
	s_cbranch_execz .LBB0_17
; %bb.16:
	v_and_b32_e32 v48, 0xffff, v48
	v_perm_b32 v77, v66, v31, 0x5040100
	v_perm_b32 v78, v37, v30, 0x5040100
	v_perm_b32 v79, v70, v27, 0x5040100
	v_perm_b32 v80, v74, v26, 0x5040100
	v_lshlrev_b32_e32 v48, 2, v48
	v_perm_b32 v81, v72, v25, 0x5040100
	v_perm_b32 v82, v67, v24, 0x5040100
	;; [unrolled: 1-line block ×9, first 2 shown]
	ds_store_2addr_b32 v48, v78, v77 offset1:1
	ds_store_2addr_b32 v48, v80, v79 offset0:2 offset1:3
	ds_store_2addr_b32 v48, v82, v81 offset0:4 offset1:5
	;; [unrolled: 1-line block ×5, first 2 shown]
	ds_store_b32 v48, v89 offset:48
.LBB0_17:
	s_wait_alu 0xfffe
	s_or_b32 exec_lo, exec_lo, s1
	global_wb scope:SCOPE_SE
	s_wait_dscnt 0x0
	s_barrier_signal -1
	s_barrier_wait -1
	global_inv scope:SCOPE_SE
	s_and_saveexec_b32 s1, s0
	s_cbranch_execz .LBB0_19
; %bb.18:
	v_add_nc_u32_e32 v20, 0x400, v38
	v_add_nc_u32_e32 v21, 0x800, v38
	;; [unrolled: 1-line block ×3, first 2 shown]
	ds_load_2addr_b32 v[30:31], v38 offset1:65
	ds_load_2addr_b32 v[26:27], v38 offset0:130 offset1:195
	ds_load_2addr_b32 v[24:25], v20 offset0:4 offset1:69
	;; [unrolled: 1-line block ×7, first 2 shown]
	s_wait_dscnt 0x7
	v_lshrrev_b32_e32 v37, 16, v30
	v_lshrrev_b32_e32 v66, 16, v31
	s_wait_dscnt 0x6
	v_lshrrev_b32_e32 v74, 16, v26
	v_lshrrev_b32_e32 v70, 16, v27
	s_wait_dscnt 0x5
	v_lshrrev_b32_e32 v67, 16, v24
	v_lshrrev_b32_e32 v72, 16, v25
	s_wait_dscnt 0x4
	v_lshrrev_b32_e32 v76, 16, v34
	v_lshrrev_b32_e32 v73, 16, v35
	s_wait_dscnt 0x3
	v_lshrrev_b32_e32 v69, 16, v32
	v_lshrrev_b32_e32 v71, 16, v33
	s_wait_dscnt 0x2
	v_lshrrev_b32_e32 v75, 16, v28
	v_lshrrev_b32_e32 v68, 16, v29
	s_wait_dscnt 0x1
	v_lshrrev_b32_e32 v36, 16, v20
	v_lshrrev_b32_e32 v63, 16, v21
	s_wait_dscnt 0x0
	v_lshrrev_b32_e32 v65, 16, v22
	v_lshrrev_b32_e32 v64, 16, v23
.LBB0_19:
	s_wait_alu 0xfffe
	s_or_b32 exec_lo, exec_lo, s1
	global_wb scope:SCOPE_SE
	s_barrier_signal -1
	s_barrier_wait -1
	global_inv scope:SCOPE_SE
	s_and_saveexec_b32 s1, s0
	s_cbranch_execz .LBB0_21
; %bb.20:
	v_mul_f16_e32 v48, v54, v26
	v_mul_f16_e32 v77, v55, v28
	;; [unrolled: 1-line block ×5, first 2 shown]
	v_fma_f16 v48, v1, v74, -v48
	v_mul_f16_e32 v62, v62, v22
	v_fma_f16 v77, v9, v75, -v77
	v_fmac_f16_e32 v78, v5, v34
	v_fmac_f16_e32 v79, v17, v22
	v_fma_f16 v5, v5, v76, -v59
	v_mul_f16_e32 v22, v54, v74
	v_mul_f16_e32 v34, v55, v75
	;; [unrolled: 1-line block ×5, first 2 shown]
	v_fmac_f16_e32 v22, v1, v26
	v_fmac_f16_e32 v34, v9, v28
	;; [unrolled: 1-line block ×3, first 2 shown]
	v_sub_f16_e32 v28, v48, v77
	v_mul_f16_e32 v77, v53, v64
	v_fmac_f16_e32 v76, v6, v35
	v_sub_f16_e32 v26, v22, v34
	v_sub_f16_e32 v34, v30, v59
	v_mul_f16_e32 v59, v50, v27
	v_fmac_f16_e32 v77, v18, v23
	v_mul_f16_e32 v35, v52, v35
	v_mul_f16_e32 v23, v53, v23
	;; [unrolled: 1-line block ×3, first 2 shown]
	v_fma_f16 v17, v17, v65, -v62
	v_mul_f16_e32 v54, v42, v24
	v_mul_f16_e32 v62, v51, v29
	v_fma_f16 v59, v2, v70, -v59
	v_fmac_f16_e32 v81, v4, v25
	v_fma_f16 v6, v6, v73, -v35
	v_fma_f16 v18, v18, v64, -v23
	v_fmac_f16_e32 v50, v2, v27
	v_mul_f16_e32 v2, v51, v68
	v_mul_f16_e32 v23, v47, v25
	;; [unrolled: 1-line block ×6, first 2 shown]
	v_fma_f16 v1, v3, v67, -v54
	v_sub_f16_e32 v54, v78, v79
	v_fma_f16 v62, v10, v68, -v62
	v_mul_f16_e32 v79, v45, v31
	v_mul_f16_e32 v80, v46, v33
	;; [unrolled: 1-line block ×3, first 2 shown]
	v_fmac_f16_e32 v2, v10, v29
	v_fma_f16 v4, v4, v72, -v23
	v_fma_f16 v10, v16, v63, -v25
	v_fmac_f16_e32 v27, v0, v31
	v_fmac_f16_e32 v35, v8, v33
	v_fma_f16 v9, v11, v36, -v55
	v_fma_f16 v79, v0, v66, -v79
	;; [unrolled: 1-line block ×3, first 2 shown]
	v_fmac_f16_e32 v52, v16, v21
	v_sub_f16_e32 v8, v4, v10
	v_sub_f16_e32 v10, v27, v35
	v_mul_f16_e32 v35, v42, v67
	v_mul_f16_e32 v36, v44, v36
	;; [unrolled: 1-line block ×3, first 2 shown]
	v_sub_f16_e32 v62, v59, v62
	v_sub_f16_e32 v0, v6, v18
	;; [unrolled: 1-line block ×5, first 2 shown]
	v_fmac_f16_e32 v35, v3, v24
	v_fmac_f16_e32 v36, v11, v20
	v_fma_f16 v3, v7, v69, -v32
	v_sub_f16_e32 v2, v50, v2
	v_sub_f16_e32 v29, v62, v16
	;; [unrolled: 1-line block ×8, first 2 shown]
	v_add_f16_e32 v23, v0, v2
	v_add_f16_e32 v25, v8, v10
	v_fmamk_f16 v42, v29, 0x39a8, v31
	v_fma_f16 v24, v35, 2.0, -v11
	v_sub_f16_e32 v11, v3, v11
	v_add_f16_e32 v55, v17, v26
	v_add_f16_e32 v65, v9, v34
	v_fmamk_f16 v33, v23, 0x39a8, v25
	v_fmac_f16_e32 v42, 0xb9a8, v23
	v_fma_f16 v20, v48, 2.0, -v28
	v_fma_f16 v5, v5, 2.0, -v17
	;; [unrolled: 1-line block ×18, first 2 shown]
	v_sub_f16_e32 v5, v20, v5
	v_sub_f16_e32 v24, v17, v24
	v_sub_f16_e32 v0, v32, v0
	v_sub_f16_e32 v21, v6, v21
	v_sub_f16_e32 v4, v30, v4
	v_sub_f16_e32 v16, v8, v16
	v_sub_f16_e32 v1, v37, v1
	v_fma_f16 v34, v34, 2.0, -v65
	v_fma_f16 v26, v26, 2.0, -v55
	v_fmamk_f16 v48, v28, 0xb9a8, v3
	v_sub_f16_e32 v23, v22, v23
	v_fmac_f16_e32 v33, 0x39a8, v29
	v_add_f16_e32 v35, v5, v24
	v_add_f16_e32 v36, v0, v21
	v_sub_f16_e32 v43, v4, v16
	v_fma_f16 v18, v18, 2.0, -v31
	v_fma_f16 v29, v62, 2.0, -v29
	;; [unrolled: 1-line block ×3, first 2 shown]
	v_fmamk_f16 v45, v26, 0xb9a8, v34
	v_fmac_f16_e32 v48, 0xb9a8, v26
	v_sub_f16_e32 v26, v1, v23
	v_fmamk_f16 v75, v55, 0x39a8, v65
	v_fmamk_f16 v27, v74, 0x39a8, v11
	;; [unrolled: 1-line block ×6, first 2 shown]
	v_fma_f16 v17, v17, 2.0, -v24
	v_fma_f16 v37, v37, 2.0, -v1
	;; [unrolled: 1-line block ×7, first 2 shown]
	v_fmac_f16_e32 v75, 0x39a8, v74
	v_fmac_f16_e32 v27, 0xb9a8, v55
	;; [unrolled: 1-line block ×6, first 2 shown]
	v_fma_f16 v22, v22, 2.0, -v23
	v_fma_f16 v23, v30, 2.0, -v4
	;; [unrolled: 1-line block ×3, first 2 shown]
	v_fmac_f16_e32 v50, 0xb9a8, v36
	v_sub_f16_e32 v5, v37, v5
	v_sub_f16_e32 v8, v6, v8
	v_fma_f16 v4, v4, 2.0, -v43
	v_fmamk_f16 v36, v21, 0xb9a8, v24
	v_fma_f16 v1, v1, 2.0, -v26
	v_fmamk_f16 v2, v42, 0x3b64, v27
	v_fma_f16 v16, v65, 2.0, -v75
	v_fma_f16 v20, v25, 2.0, -v33
	;; [unrolled: 1-line block ×3, first 2 shown]
	v_sub_f16_e32 v22, v17, v22
	v_sub_f16_e32 v0, v23, v0
	;; [unrolled: 1-line block ×3, first 2 shown]
	v_fmac_f16_e32 v36, 0x39a8, v4
	v_fmamk_f16 v4, v4, 0xb9a8, v1
	v_fma_f16 v34, v34, 2.0, -v45
	v_fma_f16 v10, v10, 2.0, -v47
	;; [unrolled: 1-line block ×4, first 2 shown]
	v_fmamk_f16 v7, v33, 0x3b64, v75
	v_fmac_f16_e32 v2, 0xb61f, v33
	v_fma_f16 v31, v31, 2.0, -v42
	v_fmamk_f16 v33, v20, 0xb61f, v16
	v_fma_f16 v11, v11, 2.0, -v27
	v_add_f16_e32 v25, v22, v0
	v_fma_f16 v43, v5, 2.0, -v35
	v_fmac_f16_e32 v4, 0xb9a8, v21
	v_fmamk_f16 v21, v10, 0xbb64, v34
	v_fma_f16 v17, v17, 2.0, -v22
	v_fma_f16 v6, v6, 2.0, -v8
	;; [unrolled: 1-line block ×4, first 2 shown]
	v_fmamk_f16 v8, v18, 0xbb64, v3
	v_fmac_f16_e32 v33, 0x3b64, v31
	v_fmamk_f16 v31, v31, 0xb61f, v11
	v_fmamk_f16 v28, v47, 0x361f, v45
	;; [unrolled: 1-line block ×3, first 2 shown]
	v_fmac_f16_e32 v21, 0x361f, v18
	v_sub_f16_e32 v6, v17, v6
	v_mul_u32_u24_e32 v18, 0xd0, v56
	v_sub_f16_e32 v0, v5, v0
	v_fmac_f16_e32 v8, 0xb61f, v10
	v_fmac_f16_e32 v31, 0xbb64, v20
	;; [unrolled: 1-line block ×5, first 2 shown]
	v_fma_f16 v20, v24, 2.0, -v36
	v_fma_f16 v10, v34, 2.0, -v21
	;; [unrolled: 1-line block ×3, first 2 shown]
	v_or_b32_e32 v18, v18, v41
	v_fma_f16 v5, v5, 2.0, -v0
	v_fma_f16 v3, v3, 2.0, -v8
	v_fma_f16 v1, v1, 2.0, -v4
	v_fma_f16 v16, v16, 2.0, -v33
	v_fma_f16 v11, v11, 2.0, -v31
	v_fma_f16 v30, v45, 2.0, -v28
	v_fma_f16 v32, v48, 2.0, -v29
	v_fma_f16 v42, v22, 2.0, -v25
	v_fma_f16 v9, v75, 2.0, -v7
	v_lshlrev_b32_e32 v18, 2, v18
	v_pack_b32_f16 v5, v17, v5
	v_pack_b32_f16 v3, v10, v3
	;; [unrolled: 1-line block ×3, first 2 shown]
	v_fma_f16 v17, v26, 2.0, -v50
	v_fma_f16 v20, v27, 2.0, -v2
	v_pack_b32_f16 v10, v16, v11
	v_pack_b32_f16 v11, v42, v43
	;; [unrolled: 1-line block ×3, first 2 shown]
	ds_store_2addr_b32 v18, v5, v3 offset1:13
	ds_store_2addr_b32 v18, v1, v10 offset0:26 offset1:39
	ds_store_2addr_b32 v18, v11, v16 offset0:52 offset1:65
	v_pack_b32_f16 v1, v49, v17
	v_pack_b32_f16 v3, v9, v20
	;; [unrolled: 1-line block ×10, first 2 shown]
	ds_store_2addr_b32 v18, v1, v3 offset0:78 offset1:91
	ds_store_2addr_b32 v18, v0, v5 offset0:104 offset1:117
	;; [unrolled: 1-line block ×5, first 2 shown]
.LBB0_21:
	s_wait_alu 0xfffe
	s_or_b32 exec_lo, exec_lo, s1
	global_wb scope:SCOPE_SE
	s_wait_dscnt 0x0
	s_barrier_signal -1
	s_barrier_wait -1
	global_inv scope:SCOPE_SE
	ds_load_2addr_b32 v[0:1], v38 offset1:208
	v_add_nc_u32_e32 v4, 0x600, v38
	ds_load_b32 v5, v38 offset:3328
	ds_load_2addr_b32 v[2:3], v4 offset0:32 offset1:240
	s_wait_dscnt 0x2
	v_lshrrev_b32_e32 v7, 16, v1
	v_mul_f16_e32 v9, v60, v1
	v_lshrrev_b32_e32 v6, 16, v0
	s_wait_dscnt 0x1
	v_lshrrev_b32_e32 v8, 16, v5
	v_mul_f16_e32 v10, v61, v5
	s_wait_dscnt 0x0
	v_lshrrev_b32_e32 v11, 16, v2
	v_lshrrev_b32_e32 v16, 16, v3
	v_mul_f16_e32 v17, v60, v7
	v_mul_f16_e32 v20, v61, v8
	v_fma_f16 v8, v15, v8, -v10
	v_fma_f16 v7, v12, v7, -v9
	v_mul_f16_e32 v10, v57, v16
	v_fmac_f16_e32 v17, v12, v1
	v_mul_f16_e32 v1, v58, v11
	v_mul_f16_e32 v9, v58, v2
	;; [unrolled: 1-line block ×3, first 2 shown]
	v_fmac_f16_e32 v10, v14, v3
	v_fmac_f16_e32 v20, v15, v5
	;; [unrolled: 1-line block ×3, first 2 shown]
	v_fma_f16 v9, v13, v11, -v9
	v_fma_f16 v11, v14, v16, -v18
	v_sub_f16_e32 v5, v7, v8
	v_add_f16_e32 v13, v17, v20
	v_add_f16_e32 v18, v1, v10
	v_sub_f16_e32 v21, v17, v1
	v_sub_f16_e32 v22, v20, v10
	v_add_f16_e32 v12, v6, v7
	v_add_f16_e32 v2, v0, v17
	v_fma_f16 v18, -0.5, v18, v0
	v_sub_f16_e32 v3, v9, v11
	v_add_f16_e32 v14, v9, v11
	v_fmac_f16_e32 v0, -0.5, v13
	v_add_f16_e32 v15, v7, v8
	v_add_f16_e32 v13, v21, v22
	v_fmamk_f16 v21, v5, 0xbb9c, v18
	v_fmac_f16_e32 v18, 0x3b9c, v5
	v_add_f16_e32 v12, v12, v9
	v_sub_f16_e32 v16, v17, v20
	v_add_f16_e32 v2, v2, v1
	v_fma_f16 v14, -0.5, v14, v6
	v_fmamk_f16 v22, v3, 0x3b9c, v0
	v_fmac_f16_e32 v0, 0xbb9c, v3
	v_sub_f16_e32 v17, v1, v17
	v_fmac_f16_e32 v21, 0xb8b4, v3
	v_fmac_f16_e32 v18, 0x38b4, v3
	v_sub_f16_e32 v1, v1, v10
	v_fmac_f16_e32 v6, -0.5, v15
	v_sub_f16_e32 v23, v10, v20
	v_add_f16_e32 v2, v2, v10
	v_fmac_f16_e32 v22, 0xb8b4, v5
	v_fmac_f16_e32 v0, 0x38b4, v5
	v_fmamk_f16 v3, v16, 0x3b9c, v14
	v_add_f16_e32 v5, v12, v11
	v_sub_f16_e32 v10, v7, v9
	v_sub_f16_e32 v12, v8, v11
	v_fmac_f16_e32 v21, 0x34f2, v13
	v_fmac_f16_e32 v18, 0x34f2, v13
	v_fmamk_f16 v13, v1, 0xbb9c, v6
	v_sub_f16_e32 v7, v9, v7
	v_sub_f16_e32 v9, v11, v8
	v_fmac_f16_e32 v6, 0x3b9c, v1
	v_fmac_f16_e32 v14, 0xbb9c, v16
	;; [unrolled: 1-line block ×3, first 2 shown]
	v_add_f16_e32 v10, v10, v12
	v_add_f16_e32 v17, v17, v23
	v_fmac_f16_e32 v13, 0x38b4, v16
	v_add_f16_e32 v7, v7, v9
	v_fmac_f16_e32 v6, 0xb8b4, v16
	v_fmac_f16_e32 v14, 0xb8b4, v1
	v_add_f16_e32 v2, v2, v20
	v_add_f16_e32 v1, v5, v8
	v_fmac_f16_e32 v3, 0x34f2, v10
	v_fmac_f16_e32 v22, 0x34f2, v17
	;; [unrolled: 1-line block ×6, first 2 shown]
	v_pack_b32_f16 v1, v2, v1
	v_pack_b32_f16 v2, v21, v3
	;; [unrolled: 1-line block ×5, first 2 shown]
	ds_store_2addr_b32 v38, v1, v2 offset1:208
	ds_store_2addr_b32 v4, v3, v0 offset0:32 offset1:240
	ds_store_b32 v38, v5 offset:3328
	global_wb scope:SCOPE_SE
	s_wait_dscnt 0x0
	s_barrier_signal -1
	s_barrier_wait -1
	global_inv scope:SCOPE_SE
	s_and_b32 exec_lo, exec_lo, vcc_lo
	s_cbranch_execz .LBB0_23
; %bb.22:
	s_clause 0x6
	global_load_b32 v0, v38, s[24:25]
	global_load_b32 v1, v38, s[24:25] offset:320
	global_load_b32 v2, v38, s[24:25] offset:640
	global_load_b32 v3, v38, s[24:25] offset:960
	global_load_b32 v8, v38, s[24:25] offset:1280
	global_load_b32 v27, v38, s[24:25] offset:1600
	global_load_b32 v37, v38, s[24:25] offset:1920
	ds_load_2addr_b32 v[11:12], v38 offset0:80 offset1:160
	v_mad_co_u64_u32 v[9:10], null, s22, v19, 0
	v_add_nc_u32_e32 v4, 0x200, v38
	ds_load_b32 v22, v38
	v_mad_co_u64_u32 v[13:14], null, s20, v40, 0
	s_mov_b32 s28, 0x1f81f820
	s_mov_b32 s29, 0x3f4f81f8
	s_mul_u64 s[26:27], s[20:21], 0x140
	s_wait_dscnt 0x1
	v_mad_co_u64_u32 v[19:20], null, s23, v19, v[10:11]
	v_add_nc_u32_e32 v5, 0x400, v38
	ds_load_2addr_b32 v[15:16], v4 offset0:112 offset1:192
	ds_load_2addr_b32 v[17:18], v5 offset0:144 offset1:224
	s_wait_dscnt 0x2
	v_lshrrev_b32_e32 v10, 16, v22
	v_lshrrev_b32_e32 v23, 16, v12
	s_clause 0x3
	global_load_b32 v5, v38, s[24:25] offset:2240
	global_load_b32 v6, v38, s[24:25] offset:2560
	;; [unrolled: 1-line block ×4, first 2 shown]
	s_wait_dscnt 0x1
	v_mad_co_u64_u32 v[20:21], null, s21, v40, v[14:15]
	v_lshrrev_b32_e32 v14, 16, v11
	v_lshrrev_b32_e32 v28, 16, v15
	;; [unrolled: 1-line block ×3, first 2 shown]
	s_wait_dscnt 0x0
	v_lshrrev_b32_e32 v30, 16, v17
	v_lshrrev_b32_e32 v42, 16, v18
	s_wait_loadcnt 0xa
	v_lshrrev_b32_e32 v21, 16, v0
	s_wait_loadcnt 0x9
	;; [unrolled: 2-line block ×5, first 2 shown]
	v_lshrrev_b32_e32 v32, 16, v8
	v_mul_f16_e32 v31, v10, v21
	v_mul_f16_e32 v21, v22, v21
	;; [unrolled: 1-line block ×5, first 2 shown]
	v_fmac_f16_e32 v31, v22, v0
	v_fma_f16 v0, v0, v10, -v21
	v_fmac_f16_e32 v34, v11, v1
	v_mul_f16_e32 v25, v12, v25
	v_fmac_f16_e32 v35, v12, v2
	v_cvt_f32_f16_e32 v10, v31
	v_cvt_f32_f16_e32 v0, v0
	;; [unrolled: 1-line block ×3, first 2 shown]
	v_mul_f16_e32 v31, v28, v26
	v_fma_f16 v2, v2, v23, -v25
	v_cvt_f64_f32_e32 v[21:22], v10
	v_fma_f16 v10, v1, v14, -v24
	v_cvt_f64_f32_e32 v[0:1], v0
	v_cvt_f64_f32_e32 v[11:12], v11
	v_cvt_f32_f16_e32 v25, v35
	v_mul_f16_e32 v14, v15, v26
	v_cvt_f32_f16_e32 v10, v10
	v_fmac_f16_e32 v31, v15, v3
	v_cvt_f32_f16_e32 v2, v2
	v_cvt_f64_f32_e32 v[25:26], v25
	s_wait_loadcnt 0x5
	v_lshrrev_b32_e32 v33, 16, v27
	v_cvt_f64_f32_e32 v[23:24], v10
	v_mul_f16_e32 v34, v29, v32
	v_fma_f16 v14, v3, v28, -v14
	v_cvt_f32_f16_e32 v15, v31
	v_cvt_f64_f32_e32 v[2:3], v2
	v_mul_f16_e32 v35, v30, v33
	v_mul_f16_e32 v10, v17, v33
	v_mul_f16_e32 v32, v16, v32
	v_fmac_f16_e32 v34, v16, v8
	v_cvt_f32_f16_e32 v14, v14
	v_cvt_f64_f32_e32 v[15:16], v15
	v_fmac_f16_e32 v35, v17, v27
	v_fma_f16 v17, v27, v30, -v10
	v_mov_b32_e32 v10, v19
	v_fma_f16 v8, v8, v29, -v32
	v_cvt_f32_f16_e32 v29, v34
	v_cvt_f64_f32_e32 v[27:28], v14
	v_cvt_f32_f16_e32 v17, v17
	v_cvt_f32_f16_e32 v31, v35
	;; [unrolled: 1-line block ×3, first 2 shown]
	v_cvt_f64_f32_e32 v[29:30], v29
	v_mov_b32_e32 v14, v20
	v_cvt_f64_f32_e32 v[33:34], v17
	s_wait_loadcnt 0x4
	v_lshrrev_b32_e32 v17, 16, v37
	v_cvt_f64_f32_e32 v[19:20], v8
	v_lshlrev_b64_e32 v[8:9], 2, v[9:10]
	v_lshlrev_b64_e32 v[13:14], 2, v[13:14]
	v_mul_f64_e32 v[21:22], s[28:29], v[21:22]
	v_cvt_f64_f32_e32 v[31:32], v31
	v_mul_f64_e32 v[35:36], s[28:29], v[0:1]
	v_mul_f64_e32 v[10:11], s[28:29], v[11:12]
	v_mul_f16_e32 v0, v42, v17
	v_add_co_u32 v8, vcc_lo, s4, v8
	v_add_co_ci_u32_e32 v9, vcc_lo, s5, v9, vcc_lo
	v_mul_f64_e32 v[25:26], s[28:29], v[25:26]
	v_mul_f16_e32 v1, v18, v17
	v_mul_f64_e32 v[23:24], s[28:29], v[23:24]
	v_fmac_f16_e32 v0, v18, v37
	v_add_co_u32 v12, vcc_lo, v8, v13
	v_mul_f64_e32 v[17:18], s[28:29], v[2:3]
	s_wait_alu 0xfffd
	v_add_co_ci_u32_e32 v13, vcc_lo, v9, v14, vcc_lo
	s_delay_alu instid0(VALU_DEP_3)
	v_add_co_u32 v40, vcc_lo, v12, s26
	v_fma_f16 v1, v37, v42, -v1
	v_mul_f64_e32 v[14:15], s[28:29], v[15:16]
	s_wait_alu 0xfffd
	v_add_co_ci_u32_e32 v41, vcc_lo, s27, v13, vcc_lo
	v_cvt_f32_f16_e32 v0, v0
	v_add_co_u32 v42, vcc_lo, v40, s26
	v_mul_f64_e32 v[27:28], s[28:29], v[27:28]
	s_wait_alu 0xfffd
	v_add_co_ci_u32_e32 v43, vcc_lo, s27, v41, vcc_lo
	v_cvt_f32_f16_e32 v16, v1
	v_mul_f64_e32 v[29:30], s[28:29], v[29:30]
	v_cvt_f64_f32_e32 v[44:45], v0
	v_mul_f64_e32 v[0:1], s[28:29], v[33:34]
	v_mul_f64_e32 v[19:20], s[28:29], v[19:20]
	v_and_or_b32 v21, 0x1ff, v22, v21
	v_mul_f64_e32 v[2:3], s[28:29], v[31:32]
	v_and_or_b32 v33, 0x1ff, v36, v35
	v_and_or_b32 v10, 0x1ff, v11, v10
	v_lshrrev_b32_e32 v31, 8, v22
	v_cmp_ne_u32_e32 vcc_lo, 0, v21
	v_lshrrev_b32_e32 v37, 8, v11
	v_bfe_u32 v46, v11, 20, 11
	v_bfe_u32 v32, v22, 20, 11
	v_and_or_b32 v25, 0x1ff, v26, v25
	s_wait_alu 0xfffd
	v_cndmask_b32_e64 v21, 0, 1, vcc_lo
	v_cmp_ne_u32_e32 vcc_lo, 0, v33
	v_and_or_b32 v23, 0x1ff, v24, v23
	v_lshrrev_b32_e32 v49, 8, v26
	v_bfe_u32 v50, v26, 20, 11
	v_and_or_b32 v17, 0x1ff, v18, v17
	s_wait_alu 0xfffd
	v_cndmask_b32_e64 v33, 0, 1, vcc_lo
	v_cmp_ne_u32_e32 vcc_lo, 0, v10
	v_lshrrev_b32_e32 v51, 8, v18
	v_bfe_u32 v52, v18, 20, 11
	v_lshrrev_b32_e32 v47, 8, v24
	v_and_or_b32 v14, 0x1ff, v15, v14
	s_wait_alu 0xfffd
	v_cndmask_b32_e64 v10, 0, 1, vcc_lo
	v_cmp_ne_u32_e32 vcc_lo, 0, v23
	v_lshrrev_b32_e32 v53, 8, v15
	v_bfe_u32 v54, v15, 20, 11
	v_sub_nc_u32_e32 v69, 0x3f1, v52
	v_and_or_b32 v27, 0x1ff, v28, v27
	s_wait_alu 0xfffd
	v_cndmask_b32_e64 v23, 0, 1, vcc_lo
	v_cmp_ne_u32_e32 vcc_lo, 0, v25
	v_lshrrev_b32_e32 v55, 8, v28
	v_and_or_b32 v29, 0x1ff, v30, v29
	v_lshrrev_b32_e32 v57, 8, v30
	v_bfe_u32 v58, v30, 20, 11
	s_wait_alu 0xfffd
	v_cndmask_b32_e64 v25, 0, 1, vcc_lo
	v_cmp_ne_u32_e32 vcc_lo, 0, v17
	v_and_or_b32 v19, 0x1ff, v20, v19
	v_lshrrev_b32_e32 v59, 8, v20
	v_bfe_u32 v60, v20, 20, 11
	v_bfe_u32 v56, v28, 20, 11
	s_wait_alu 0xfffd
	v_cndmask_b32_e64 v17, 0, 1, vcc_lo
	v_cmp_ne_u32_e32 vcc_lo, 0, v14
	v_sub_nc_u32_e32 v72, 0x3f1, v58
	v_sub_nc_u32_e32 v73, 0x3f1, v60
	v_add_nc_u32_e32 v60, 0xfffffc10, v60
	v_sub_nc_u32_e32 v71, 0x3f1, v56
	s_wait_alu 0xfffd
	v_cndmask_b32_e64 v14, 0, 1, vcc_lo
	v_cmp_ne_u32_e32 vcc_lo, 0, v27
	v_sub_nc_u32_e32 v70, 0x3f1, v54
	v_and_or_b32 v17, 0xffe, v51, v17
	v_bfe_u32 v48, v24, 20, 11
	v_and_or_b32 v14, 0xffe, v53, v14
	s_wait_alu 0xfffd
	v_cndmask_b32_e64 v27, 0, 1, vcc_lo
	v_cmp_ne_u32_e32 vcc_lo, 0, v29
	v_and_or_b32 v2, 0x1ff, v3, v2
	v_sub_nc_u32_e32 v68, 0x3f1, v50
	v_and_or_b32 v25, 0xffe, v49, v25
	v_and_or_b32 v27, 0xffe, v55, v27
	s_wait_alu 0xfffd
	v_cndmask_b32_e64 v29, 0, 1, vcc_lo
	v_cmp_ne_u32_e32 vcc_lo, 0, v19
	v_and_or_b32 v0, 0x1ff, v1, v0
	v_sub_nc_u32_e32 v67, 0x3f1, v48
	v_and_or_b32 v23, 0xffe, v47, v23
	v_and_or_b32 v29, 0xffe, v57, v29
	s_wait_alu 0xfffd
	v_cndmask_b32_e64 v19, 0, 1, vcc_lo
	v_cmp_ne_u32_e32 vcc_lo, 0, v2
	v_lshrrev_b32_e32 v34, 8, v36
	v_bfe_u32 v35, v36, 20, 11
	v_sub_nc_u32_e32 v66, 0x3f1, v46
	v_and_or_b32 v19, 0xffe, v59, v19
	v_med3_i32 v59, v73, 0, 13
	s_wait_alu 0xfffd
	v_cndmask_b32_e64 v2, 0, 1, vcc_lo
	v_cmp_ne_u32_e32 vcc_lo, 0, v0
	v_and_or_b32 v21, 0xffe, v31, v21
	v_lshl_or_b32 v83, v60, 12, v19
	v_add_nc_u32_e32 v58, 0xfffffc10, v58
	v_and_or_b32 v10, 0xffe, v37, v10
	v_med3_i32 v55, v71, 0, 13
	v_sub_nc_u32_e32 v64, 0x3f1, v32
	v_sub_nc_u32_e32 v65, 0x3f1, v35
	v_lshl_or_b32 v81, v58, 12, v29
	v_add_nc_u32_e32 v56, 0xfffffc10, v56
	s_wait_alu 0xfffd
	v_cndmask_b32_e64 v0, 0, 1, vcc_lo
	v_and_or_b32 v33, 0xffe, v34, v33
	v_med3_i32 v51, v69, 0, 13
	v_cmp_ne_u32_e32 vcc_lo, 0, v21
	v_lshl_or_b32 v79, v56, 12, v27
	v_add_nc_u32_e32 v54, 0xfffffc10, v54
	v_add_nc_u32_e32 v35, 0xfffffc10, v35
	v_med3_i32 v31, v64, 0, 13
	v_med3_i32 v34, v65, 0, 13
	v_or_b32_e32 v64, 0x1000, v21
	v_lshl_or_b32 v77, v54, 12, v14
	v_add_nc_u32_e32 v52, 0xfffffc10, v52
	v_med3_i32 v37, v66, 0, 13
	v_med3_i32 v47, v67, 0, 13
	v_or_b32_e32 v66, 0x1000, v33
	v_lshl_or_b32 v67, v35, 12, v33
	v_lshl_or_b32 v75, v52, 12, v17
	v_add_nc_u32_e32 v50, 0xfffffc10, v50
	v_med3_i32 v49, v68, 0, 13
	v_or_b32_e32 v68, 0x1000, v10
	v_bfe_u32 v62, v3, 20, 11
	v_med3_i32 v53, v70, 0, 13
	v_lshl_or_b32 v73, v50, 12, v25
	v_add_nc_u32_e32 v48, 0xfffffc10, v48
	v_or_b32_e32 v70, 0x1000, v23
	v_lshrrev_b32_e32 v61, 8, v3
	v_sub_nc_u32_e32 v74, 0x3f1, v62
	v_med3_i32 v57, v72, 0, 13
	v_lshl_or_b32 v71, v48, 12, v23
	v_add_nc_u32_e32 v46, 0xfffffc10, v46
	v_or_b32_e32 v72, 0x1000, v25
	v_and_or_b32 v2, 0xffe, v61, v2
	v_med3_i32 v61, v74, 0, 13
	v_or_b32_e32 v74, 0x1000, v17
	v_lshl_or_b32 v69, v46, 12, v10
	v_add_nc_u32_e32 v32, 0xfffffc10, v32
	v_or_b32_e32 v76, 0x1000, v14
	v_or_b32_e32 v78, 0x1000, v27
	v_lshrrev_b32_e32 v85, v31, v64
	v_or_b32_e32 v80, 0x1000, v29
	v_lshl_or_b32 v65, v32, 12, v21
	s_wait_alu 0xfffd
	v_cndmask_b32_e64 v21, 0, 1, vcc_lo
	v_cmp_ne_u32_e32 vcc_lo, 0, v33
	v_lshrrev_b32_e32 v86, v34, v66
	v_lshlrev_b32_e32 v31, v31, v85
	v_or_b32_e32 v82, 0x1000, v19
	v_lshrrev_b32_e32 v87, v37, v68
	s_wait_alu 0xfffd
	v_cndmask_b32_e64 v33, 0, 1, vcc_lo
	v_cmp_ne_u32_e32 vcc_lo, 0, v10
	v_lshlrev_b32_e32 v34, v34, v86
	v_lshrrev_b32_e32 v88, v47, v70
	v_lshrrev_b32_e32 v89, v49, v72
	;; [unrolled: 1-line block ×3, first 2 shown]
	s_wait_alu 0xfffd
	v_cndmask_b32_e64 v10, 0, 1, vcc_lo
	v_cmp_ne_u32_e32 vcc_lo, 0, v23
	v_lshrrev_b32_e32 v91, v53, v76
	v_lshlrev_b32_e32 v49, v49, v89
	v_lshlrev_b32_e32 v51, v51, v90
	v_lshl_or_b32 v10, v10, 9, 0x7c00
	s_wait_alu 0xfffd
	v_cndmask_b32_e64 v23, 0, 1, vcc_lo
	v_cmp_ne_u32_e32 vcc_lo, 0, v25
	v_lshlrev_b32_e32 v47, v47, v88
	v_lshrrev_b32_e32 v92, v55, v78
	v_lshlrev_b32_e32 v53, v53, v91
	v_lshrrev_b32_e32 v93, v57, v80
	s_wait_alu 0xfffd
	v_cndmask_b32_e64 v25, 0, 1, vcc_lo
	v_cmp_ne_u32_e32 vcc_lo, 0, v17
	v_or_b32_e32 v84, 0x1000, v2
	v_lshrrev_b32_e32 v94, v59, v82
	v_lshlrev_b32_e32 v57, v57, v93
	v_lshl_or_b32 v21, v21, 9, 0x7c00
	s_wait_alu 0xfffd
	v_cndmask_b32_e64 v17, 0, 1, vcc_lo
	v_cmp_ne_u32_e32 vcc_lo, 0, v14
	v_lshrrev_b32_e32 v95, v61, v84
	v_lshlrev_b32_e32 v59, v59, v94
	v_lshl_or_b32 v33, v33, 9, 0x7c00
	v_lshrrev_b32_e32 v11, 16, v11
	s_wait_alu 0xfffd
	v_cndmask_b32_e64 v14, 0, 1, vcc_lo
	v_cmp_ne_u32_e32 vcc_lo, 0, v27
	v_lshlrev_b32_e32 v61, v61, v95
	v_lshl_or_b32 v23, v23, 9, 0x7c00
	v_lshl_or_b32 v25, v25, 9, 0x7c00
	;; [unrolled: 1-line block ×3, first 2 shown]
	s_wait_alu 0xfffd
	v_cndmask_b32_e64 v27, 0, 1, vcc_lo
	v_cmp_ne_u32_e32 vcc_lo, 0, v29
	v_lshlrev_b32_e32 v55, v55, v92
	v_lshl_or_b32 v17, v17, 9, 0x7c00
	v_lshrrev_b32_e32 v15, 16, v15
	v_lshl_or_b32 v27, v27, 9, 0x7c00
	s_wait_alu 0xfffd
	v_cndmask_b32_e64 v29, 0, 1, vcc_lo
	v_cmp_ne_u32_e32 vcc_lo, 0, v19
	v_lshrrev_b32_e32 v22, 16, v22
	v_lshrrev_b32_e32 v24, 16, v24
	v_lshrrev_b32_e32 v26, 16, v26
	v_lshl_or_b32 v29, v29, 9, 0x7c00
	s_wait_alu 0xfffd
	v_cndmask_b32_e64 v19, 0, 1, vcc_lo
	v_cmp_ne_u32_e32 vcc_lo, v31, v64
	v_lshrrev_b32_e32 v36, 16, v36
	v_lshrrev_b32_e32 v18, 16, v18
	;; [unrolled: 7-line block ×3, first 2 shown]
	v_lshrrev_b32_e32 v30, 16, v30
	v_or_b32_e32 v31, v85, v31
	s_wait_alu 0xfffd
	v_cndmask_b32_e64 v34, 0, 1, vcc_lo
	v_lshrrev_b32_e32 v3, 16, v3
	v_and_or_b32 v0, 0xffe, v63, v0
	s_delay_alu instid0(VALU_DEP_3) | instskip(SKIP_1) | instid1(VALU_DEP_1)
	v_or_b32_e32 v34, v86, v34
	v_lshlrev_b32_e32 v37, v37, v87
	v_cmp_ne_u32_e32 vcc_lo, v37, v68
	s_wait_alu 0xfffd
	v_cndmask_b32_e64 v37, 0, 1, vcc_lo
	v_cmp_ne_u32_e32 vcc_lo, v47, v70
	s_delay_alu instid0(VALU_DEP_2) | instskip(SKIP_3) | instid1(VALU_DEP_2)
	v_or_b32_e32 v37, v87, v37
	s_wait_alu 0xfffd
	v_cndmask_b32_e64 v47, 0, 1, vcc_lo
	v_cmp_ne_u32_e32 vcc_lo, v49, v72
	v_or_b32_e32 v47, v88, v47
	s_wait_alu 0xfffd
	v_cndmask_b32_e64 v49, 0, 1, vcc_lo
	v_cmp_ne_u32_e32 vcc_lo, v51, v74
	s_delay_alu instid0(VALU_DEP_2) | instskip(SKIP_3) | instid1(VALU_DEP_2)
	v_or_b32_e32 v49, v89, v49
	s_wait_alu 0xfffd
	v_cndmask_b32_e64 v51, 0, 1, vcc_lo
	v_cmp_ne_u32_e32 vcc_lo, v53, v76
	v_or_b32_e32 v51, v90, v51
	;; [unrolled: 9-line block ×4, first 2 shown]
	s_wait_alu 0xfffd
	v_cndmask_b32_e64 v61, 0, 1, vcc_lo
	v_cmp_gt_i32_e32 vcc_lo, 1, v32
	s_delay_alu instid0(VALU_DEP_2) | instskip(SKIP_3) | instid1(VALU_DEP_2)
	v_or_b32_e32 v61, v95, v61
	s_wait_alu 0xfffd
	v_cndmask_b32_e32 v31, v65, v31, vcc_lo
	v_cmp_gt_i32_e32 vcc_lo, 1, v35
	v_and_b32_e32 v64, 7, v31
	s_wait_alu 0xfffd
	v_cndmask_b32_e32 v34, v67, v34, vcc_lo
	v_cmp_gt_i32_e32 vcc_lo, 1, v46
	v_lshrrev_b32_e32 v31, 2, v31
	v_cmp_eq_u32_e64 s0, 3, v64
	s_delay_alu instid0(VALU_DEP_4)
	v_and_b32_e32 v65, 7, v34
	s_wait_alu 0xfffd
	v_cndmask_b32_e32 v37, v69, v37, vcc_lo
	v_cmp_gt_i32_e32 vcc_lo, 1, v48
	v_lshrrev_b32_e32 v34, 2, v34
	v_cmp_lt_i32_e64 s1, 5, v65
	s_wait_alu 0xfffd
	v_dual_cndmask_b32 v47, v71, v47 :: v_dual_and_b32 v66, 7, v37
	v_cmp_gt_i32_e32 vcc_lo, 1, v50
	v_cmp_eq_u32_e64 s2, 3, v65
	v_lshrrev_b32_e32 v37, 2, v37
	s_delay_alu instid0(VALU_DEP_4)
	v_cmp_lt_i32_e64 s3, 5, v66
	v_and_b32_e32 v67, 7, v47
	s_wait_alu 0xfffd
	v_cndmask_b32_e32 v49, v73, v49, vcc_lo
	v_cmp_gt_i32_e32 vcc_lo, 1, v52
	v_cmp_eq_u32_e64 s4, 3, v66
	v_lshrrev_b32_e32 v47, 2, v47
	v_cmp_lt_i32_e64 s5, 5, v67
	s_wait_alu 0xfffd
	v_dual_cndmask_b32 v51, v75, v51 :: v_dual_and_b32 v68, 7, v49
	v_cmp_gt_i32_e32 vcc_lo, 1, v54
	v_cmp_eq_u32_e64 s6, 3, v67
	v_lshrrev_b32_e32 v49, 2, v49
	s_delay_alu instid0(VALU_DEP_4)
	v_cmp_lt_i32_e64 s7, 5, v68
	v_and_b32_e32 v69, 7, v51
	s_wait_alu 0xfffd
	v_cndmask_b32_e32 v53, v77, v53, vcc_lo
	v_cmp_gt_i32_e32 vcc_lo, 1, v56
	v_cmp_eq_u32_e64 s8, 3, v68
	;; [unrolled: 14-line block ×3, first 2 shown]
	v_lshrrev_b32_e32 v55, 2, v55
	v_cmp_lt_i32_e64 s13, 5, v71
	s_wait_alu 0xfffd
	v_dual_cndmask_b32 v59, v83, v59 :: v_dual_and_b32 v72, 7, v57
	v_cmp_lt_i32_e32 vcc_lo, 5, v64
	v_cmp_eq_u32_e64 s14, 3, v71
	v_lshrrev_b32_e32 v57, 2, v57
	s_delay_alu instid0(VALU_DEP_4)
	v_cmp_lt_i32_e64 s15, 5, v72
	v_and_b32_e32 v73, 7, v59
	s_or_b32 vcc_lo, s0, vcc_lo
	v_cmp_eq_u32_e64 s16, 3, v72
	s_wait_alu 0xfffe
	v_add_co_ci_u32_e32 v31, vcc_lo, 0, v31, vcc_lo
	s_or_b32 vcc_lo, s2, s1
	v_cmp_lt_i32_e64 s17, 5, v73
	s_wait_alu 0xfffe
	v_add_co_ci_u32_e32 v34, vcc_lo, 0, v34, vcc_lo
	s_or_b32 vcc_lo, s4, s3
	v_cmp_eq_u32_e64 s18, 3, v73
	s_wait_alu 0xfffe
	v_add_co_ci_u32_e32 v37, vcc_lo, 0, v37, vcc_lo
	s_or_b32 vcc_lo, s6, s5
	v_lshrrev_b32_e32 v59, 2, v59
	s_wait_alu 0xfffe
	v_add_co_ci_u32_e32 v47, vcc_lo, 0, v47, vcc_lo
	s_or_b32 vcc_lo, s8, s7
	s_wait_alu 0xfffe
	v_add_co_ci_u32_e32 v49, vcc_lo, 0, v49, vcc_lo
	s_or_b32 vcc_lo, s10, s9
	;; [unrolled: 3-line block ×6, first 2 shown]
	s_wait_alu 0xfffe
	v_add_co_ci_u32_e32 v59, vcc_lo, 0, v59, vcc_lo
	v_cmp_gt_i32_e32 vcc_lo, 31, v32
	s_wait_alu 0xfffd
	v_cndmask_b32_e32 v31, 0x7c00, v31, vcc_lo
	v_cmp_gt_i32_e32 vcc_lo, 31, v35
	s_wait_alu 0xfffd
	v_cndmask_b32_e32 v34, 0x7c00, v34, vcc_lo
	;; [unrolled: 3-line block ×10, first 2 shown]
	v_cmp_eq_u32_e32 vcc_lo, 0x40f, v32
	s_wait_alu 0xfffd
	v_cndmask_b32_e32 v21, v31, v21, vcc_lo
	v_cmp_eq_u32_e32 vcc_lo, 0x40f, v35
	v_add_nc_u32_e32 v62, 0xfffffc10, v62
	s_delay_alu instid0(VALU_DEP_3) | instskip(SKIP_3) | instid1(VALU_DEP_3)
	v_and_or_b32 v21, 0x8000, v22, v21
	s_wait_alu 0xfffd
	v_cndmask_b32_e32 v31, v34, v33, vcc_lo
	v_cmp_eq_u32_e32 vcc_lo, 0x40f, v46
	v_and_b32_e32 v21, 0xffff, v21
	s_delay_alu instid0(VALU_DEP_3) | instskip(SKIP_3) | instid1(VALU_DEP_2)
	v_and_or_b32 v22, 0x8000, v36, v31
	s_wait_alu 0xfffd
	v_cndmask_b32_e32 v10, v37, v10, vcc_lo
	v_cmp_eq_u32_e32 vcc_lo, 0x40f, v48
	v_and_or_b32 v10, 0x8000, v11, v10
	s_wait_alu 0xfffd
	v_cndmask_b32_e32 v23, v47, v23, vcc_lo
	v_cmp_eq_u32_e32 vcc_lo, 0x40f, v50
	s_delay_alu instid0(VALU_DEP_3) | instskip(NEXT) | instid1(VALU_DEP_3)
	v_and_b32_e32 v10, 0xffff, v10
	v_and_or_b32 v11, 0x8000, v24, v23
	s_wait_alu 0xfffd
	v_cndmask_b32_e32 v25, v49, v25, vcc_lo
	v_cmp_eq_u32_e32 vcc_lo, 0x40f, v52
	s_delay_alu instid0(VALU_DEP_3) | instskip(SKIP_3) | instid1(VALU_DEP_2)
	v_lshl_or_b32 v10, v11, 16, v10
	s_wait_alu 0xfffd
	v_cndmask_b32_e32 v17, v51, v17, vcc_lo
	v_cmp_eq_u32_e32 vcc_lo, 0x40f, v54
	v_and_or_b32 v17, 0x8000, v18, v17
	s_wait_alu 0xfffd
	v_cndmask_b32_e32 v14, v53, v14, vcc_lo
	v_cmp_eq_u32_e32 vcc_lo, 0x40f, v56
	s_delay_alu instid0(VALU_DEP_2) | instskip(SKIP_3) | instid1(VALU_DEP_3)
	v_and_or_b32 v14, 0x8000, v15, v14
	s_wait_alu 0xfffd
	v_cndmask_b32_e32 v27, v55, v27, vcc_lo
	v_cmp_eq_u32_e32 vcc_lo, 0x40f, v58
	v_and_b32_e32 v14, 0xffff, v14
	v_and_or_b32 v23, 0x8000, v26, v25
	s_wait_alu 0xfffd
	v_cndmask_b32_e32 v29, v57, v29, vcc_lo
	v_cmp_eq_u32_e32 vcc_lo, 0x40f, v60
	s_delay_alu instid0(VALU_DEP_3) | instskip(SKIP_3) | instid1(VALU_DEP_3)
	v_and_b32_e32 v23, 0xffff, v23
	s_wait_alu 0xfffd
	v_cndmask_b32_e32 v19, v59, v19, vcc_lo
	v_cmp_gt_i32_e32 vcc_lo, 1, v62
	v_lshl_or_b32 v11, v17, 16, v23
	v_or_b32_e32 v23, 0x1000, v0
	s_delay_alu instid0(VALU_DEP_4)
	v_and_or_b32 v19, 0x8000, v20, v19
	v_lshl_or_b32 v20, v22, 16, v21
	s_clause 0x2
	global_store_b32 v[12:13], v20, off
	global_store_b32 v[40:41], v10, off
	;; [unrolled: 1-line block ×3, first 2 shown]
	v_bfe_u32 v20, v1, 20, 11
	v_add_nc_u32_e32 v12, 0x800, v38
	v_and_or_b32 v15, 0x8000, v28, v27
	v_cvt_f64_f32_e32 v[10:11], v16
	v_lshrrev_b32_e32 v1, 16, v1
	ds_load_2addr_b32 v[12:13], v12 offset0:48 offset1:128
	v_lshl_or_b32 v22, v15, 16, v14
	v_sub_nc_u32_e32 v15, 0x3f1, v20
	v_lshl_or_b32 v14, v62, 12, v2
	s_delay_alu instid0(VALU_DEP_2) | instskip(SKIP_1) | instid1(VALU_DEP_2)
	v_med3_i32 v24, v15, 0, 13
	s_wait_alu 0xfffd
	v_cndmask_b32_e32 v21, v14, v61, vcc_lo
	v_mul_f64_e32 v[14:15], s[28:29], v[44:45]
	v_add_co_u32 v16, vcc_lo, v42, s26
	v_lshrrev_b32_e32 v27, v24, v23
	s_wait_alu 0xfffd
	v_add_co_ci_u32_e32 v17, vcc_lo, s27, v43, vcc_lo
	v_and_b32_e32 v26, 7, v21
	v_lshrrev_b32_e32 v21, 2, v21
	v_lshlrev_b32_e32 v24, v24, v27
	s_delay_alu instid0(VALU_DEP_3) | instskip(NEXT) | instid1(VALU_DEP_2)
	v_cmp_eq_u32_e64 s0, 3, v26
	v_cmp_ne_u32_e64 s1, v24, v23
	v_add_nc_u32_e32 v24, 0xfffffc10, v20
	v_and_or_b32 v18, 0x8000, v30, v29
	s_wait_loadcnt 0x3
	v_lshrrev_b32_e32 v30, 16, v5
	s_clause 0x1
	global_load_b32 v28, v38, s[24:25] offset:3520
	global_load_b32 v29, v38, s[24:25] offset:3840
	s_wait_alu 0xf1ff
	v_cndmask_b32_e64 v23, 0, 1, s1
	v_and_b32_e32 v18, 0xffff, v18
	s_delay_alu instid0(VALU_DEP_2) | instskip(SKIP_1) | instid1(VALU_DEP_3)
	v_or_b32_e32 v23, v27, v23
	v_lshl_or_b32 v27, v24, 12, v0
	v_lshl_or_b32 v25, v19, 16, v18
	v_add_co_u32 v18, vcc_lo, v16, s26
	s_wait_alu 0xfffd
	v_add_co_ci_u32_e32 v19, vcc_lo, s27, v17, vcc_lo
	v_cmp_lt_i32_e32 vcc_lo, 5, v26
	s_wait_dscnt 0x0
	v_lshrrev_b32_e32 v26, 16, v12
	v_mul_f64_e32 v[10:11], s[28:29], v[10:11]
	s_clause 0x1
	global_store_b32 v[16:17], v22, off
	global_store_b32 v[18:19], v25, off
	s_or_b32 vcc_lo, s0, vcc_lo
	v_mul_f16_e32 v20, v26, v30
	s_wait_alu 0xfffe
	v_add_co_ci_u32_e32 v21, vcc_lo, 0, v21, vcc_lo
	v_cmp_ne_u32_e32 vcc_lo, 0, v2
	v_and_or_b32 v14, 0x1ff, v15, v14
	v_fmac_f16_e32 v20, v12, v5
	v_bfe_u32 v32, v15, 20, 11
	v_mul_f16_e32 v12, v12, v30
	s_wait_alu 0xfffd
	v_cndmask_b32_e64 v2, 0, 1, vcc_lo
	v_cmp_gt_i32_e32 vcc_lo, 1, v24
	v_cvt_f32_f16_e32 v20, v20
	v_cmp_ne_u32_e64 s0, 0, v14
	v_fma_f16 v5, v5, v26, -v12
	v_lshl_or_b32 v2, v2, 9, 0x7c00
	s_wait_alu 0xfffd
	v_cndmask_b32_e32 v23, v27, v23, vcc_lo
	v_cmp_gt_i32_e32 vcc_lo, 31, v62
	s_wait_alu 0xf1ff
	v_cndmask_b32_e64 v14, 0, 1, s0
	s_delay_alu instid0(VALU_DEP_3)
	v_and_b32_e32 v31, 7, v23
	s_wait_alu 0xfffd
	v_cndmask_b32_e32 v27, 0x7c00, v21, vcc_lo
	v_cmp_eq_u32_e32 vcc_lo, 0x40f, v62
	v_cvt_f64_f32_e32 v[20:21], v20
	v_cmp_eq_u32_e64 s0, 3, v31
	s_wait_alu 0xfffd
	v_cndmask_b32_e32 v2, v27, v2, vcc_lo
	v_cmp_lt_i32_e32 vcc_lo, 5, v31
	v_lshrrev_b32_e32 v27, 8, v15
	v_lshrrev_b32_e32 v15, 16, v15
	s_delay_alu instid0(VALU_DEP_4)
	v_and_or_b32 v31, 0x8000, v3, v2
	v_lshrrev_b32_e32 v2, 2, v23
	s_or_b32 vcc_lo, s0, vcc_lo
	v_and_or_b32 v14, 0xffe, v27, v14
	v_sub_nc_u32_e32 v3, 0x3f1, v32
	v_and_or_b32 v10, 0x1ff, v11, v10
	s_wait_alu 0xfffe
	v_add_co_ci_u32_e32 v2, vcc_lo, 0, v2, vcc_lo
	v_cmp_ne_u32_e32 vcc_lo, 0, v0
	v_or_b32_e32 v23, 0x1000, v14
	v_med3_i32 v3, v3, 0, 13
	s_wait_alu 0xfffd
	v_cndmask_b32_e64 v0, 0, 1, vcc_lo
	v_cmp_gt_i32_e32 vcc_lo, 31, v24
	s_delay_alu instid0(VALU_DEP_3) | instskip(NEXT) | instid1(VALU_DEP_3)
	v_lshrrev_b32_e32 v27, v3, v23
	v_lshl_or_b32 v0, v0, 9, 0x7c00
	s_wait_alu 0xfffd
	v_cndmask_b32_e32 v2, 0x7c00, v2, vcc_lo
	v_cmp_eq_u32_e32 vcc_lo, 0x40f, v24
	v_lshlrev_b32_e32 v12, v3, v27
	v_bfe_u32 v24, v11, 20, 11
	s_wait_alu 0xfffd
	v_cndmask_b32_e32 v0, v2, v0, vcc_lo
	v_cvt_f32_f16_e32 v2, v5
	v_cmp_ne_u32_e32 vcc_lo, 0, v10
	v_lshrrev_b32_e32 v10, 8, v11
	v_mul_f64_e32 v[20:21], s[28:29], v[20:21]
	v_and_or_b32 v0, 0x8000, v1, v0
	v_cvt_f64_f32_e32 v[2:3], v2
	s_wait_alu 0xfffd
	v_cndmask_b32_e64 v5, 0, 1, vcc_lo
	v_cmp_ne_u32_e32 vcc_lo, v12, v23
	v_add_nc_u32_e32 v23, 0xfffffc10, v32
	v_and_b32_e32 v1, 0xffff, v31
	v_lshrrev_b32_e32 v11, 16, v11
	v_and_or_b32 v5, 0xffe, v10, v5
	s_wait_alu 0xfffd
	v_cndmask_b32_e64 v12, 0, 1, vcc_lo
	v_sub_nc_u32_e32 v10, 0x3f1, v24
	v_lshl_or_b32 v26, v23, 12, v14
	v_cmp_gt_i32_e32 vcc_lo, 1, v23
	v_lshl_or_b32 v22, v0, 16, v1
	v_or_b32_e32 v12, v27, v12
	v_or_b32_e32 v27, 0x1000, v5
	v_med3_i32 v10, v10, 0, 13
	v_add_nc_u32_e32 v24, 0xfffffc10, v24
	s_wait_alu 0xfffd
	v_cndmask_b32_e32 v12, v26, v12, vcc_lo
	v_add_co_u32 v0, vcc_lo, v18, s26
	v_lshrrev_b32_e32 v26, v10, v27
	s_wait_alu 0xfffd
	v_add_co_ci_u32_e32 v1, vcc_lo, s27, v19, vcc_lo
	v_and_b32_e32 v16, 7, v12
	v_lshrrev_b32_e32 v12, 2, v12
	v_lshlrev_b32_e32 v10, v10, v26
	v_lshrrev_b32_e32 v18, 16, v13
	s_wait_loadcnt 0x4
	v_lshrrev_b32_e32 v19, 16, v6
	v_cmp_lt_i32_e32 vcc_lo, 5, v16
	v_cmp_eq_u32_e64 s0, 3, v16
	v_cmp_ne_u32_e64 s1, v10, v27
	v_lshl_or_b32 v17, v24, 12, v5
	v_mul_f16_e32 v16, v18, v19
	global_store_b32 v[0:1], v22, off
	s_or_b32 vcc_lo, s0, vcc_lo
	v_cndmask_b32_e64 v10, 0, 1, s1
	s_wait_alu 0xfffe
	v_add_co_ci_u32_e32 v12, vcc_lo, 0, v12, vcc_lo
	v_cmp_ne_u32_e32 vcc_lo, 0, v14
	v_mul_f64_e32 v[2:3], s[28:29], v[2:3]
	v_or_b32_e32 v10, v26, v10
	v_and_or_b32 v20, 0x1ff, v21, v20
	v_fmac_f16_e32 v16, v13, v6
	s_wait_alu 0xfffd
	v_cndmask_b32_e64 v14, 0, 1, vcc_lo
	v_cmp_gt_i32_e32 vcc_lo, 1, v24
	v_lshrrev_b32_e32 v25, 8, v21
	v_bfe_u32 v26, v21, 20, 11
	v_cvt_f32_f16_e32 v16, v16
	v_lshl_or_b32 v14, v14, 9, 0x7c00
	s_wait_alu 0xfffd
	v_cndmask_b32_e32 v10, v17, v10, vcc_lo
	v_cmp_ne_u32_e32 vcc_lo, 0, v20
	v_cmp_eq_u32_e64 s1, 0x40f, v23
	v_cvt_f64_f32_e32 v[16:17], v16
	v_mul_f16_e32 v13, v13, v19
	v_and_b32_e32 v27, 7, v10
	s_wait_alu 0xfffd
	v_cndmask_b32_e64 v20, 0, 1, vcc_lo
	v_cmp_gt_i32_e32 vcc_lo, 31, v23
	v_lshrrev_b32_e32 v10, 2, v10
	v_fma_f16 v6, v6, v18, -v13
	v_cmp_eq_u32_e64 s0, 3, v27
	v_and_or_b32 v20, 0xffe, v25, v20
	v_sub_nc_u32_e32 v25, 0x3f1, v26
	s_wait_alu 0xfffd
	v_cndmask_b32_e32 v12, 0x7c00, v12, vcc_lo
	v_cmp_lt_i32_e32 vcc_lo, 5, v27
	v_lshrrev_b32_e32 v21, 16, v21
	v_or_b32_e32 v27, 0x1000, v20
	v_med3_i32 v25, v25, 0, 13
	s_wait_alu 0xf1ff
	v_cndmask_b32_e64 v14, v12, v14, s1
	s_or_b32 vcc_lo, s0, vcc_lo
	s_wait_alu 0xfffe
	v_add_co_ci_u32_e32 v10, vcc_lo, 0, v10, vcc_lo
	v_lshrrev_b32_e32 v12, v25, v27
	v_cmp_ne_u32_e32 vcc_lo, 0, v5
	v_and_or_b32 v14, 0x8000, v15, v14
	s_delay_alu instid0(VALU_DEP_3)
	v_lshlrev_b32_e32 v23, v25, v12
	s_wait_alu 0xfffd
	v_cndmask_b32_e64 v5, 0, 1, vcc_lo
	v_cmp_gt_i32_e32 vcc_lo, 31, v24
	v_and_or_b32 v2, 0x1ff, v3, v2
	v_lshrrev_b32_e32 v13, 8, v3
	v_add_nc_u32_e32 v25, 0xfffffc10, v26
	v_lshl_or_b32 v19, v5, 9, 0x7c00
	s_wait_alu 0xfffd
	v_cndmask_b32_e32 v10, 0x7c00, v10, vcc_lo
	v_cmp_ne_u32_e32 vcc_lo, v23, v27
	v_bfe_u32 v23, v3, 20, 11
	s_wait_alu 0xfffd
	v_cndmask_b32_e64 v5, 0, 1, vcc_lo
	v_cmp_ne_u32_e32 vcc_lo, 0, v2
	s_delay_alu instid0(VALU_DEP_2)
	v_or_b32_e32 v18, v12, v5
	s_wait_alu 0xfffd
	v_cndmask_b32_e64 v2, 0, 1, vcc_lo
	v_cvt_f32_f16_e32 v12, v6
	v_cmp_eq_u32_e32 vcc_lo, 0x40f, v24
	v_mul_f64_e32 v[5:6], s[28:29], v[16:17]
	v_lshl_or_b32 v17, v25, 12, v20
	v_and_or_b32 v2, 0xffe, v13, v2
	v_cvt_f64_f32_e32 v[12:13], v12
	s_wait_alu 0xfffd
	v_cndmask_b32_e32 v10, v10, v19, vcc_lo
	v_cmp_gt_i32_e32 vcc_lo, 1, v25
	v_sub_nc_u32_e32 v16, 0x3f1, v23
	v_or_b32_e32 v19, 0x1000, v2
	v_and_b32_e32 v24, 0xffff, v14
	v_and_or_b32 v22, 0x8000, v11, v10
	s_wait_alu 0xfffd
	v_cndmask_b32_e32 v17, v17, v18, vcc_lo
	v_med3_i32 v16, v16, 0, 13
	v_add_nc_u32_e32 v10, 0xa00, v38
	v_lshl_or_b32 v22, v22, 16, v24
	s_delay_alu instid0(VALU_DEP_4) | instskip(NEXT) | instid1(VALU_DEP_4)
	v_and_b32_e32 v18, 7, v17
	v_lshrrev_b32_e32 v15, v16, v19
	ds_load_2addr_b32 v[10:11], v10 offset0:80 offset1:160
	v_cmp_lt_i32_e32 vcc_lo, 5, v18
	v_cmp_eq_u32_e64 s0, 3, v18
	v_lshlrev_b32_e32 v14, v16, v15
	v_lshrrev_b32_e32 v16, 2, v17
	v_add_nc_u32_e32 v17, 0xfffffc10, v23
	s_delay_alu instid0(VALU_DEP_4) | instskip(NEXT) | instid1(VALU_DEP_3)
	s_or_b32 vcc_lo, s0, vcc_lo
	v_cmp_ne_u32_e64 s1, v14, v19
	s_wait_alu 0xfffe
	v_add_co_ci_u32_e32 v16, vcc_lo, 0, v16, vcc_lo
	v_cmp_ne_u32_e32 vcc_lo, 0, v20
	s_wait_loadcnt 0x3
	v_lshrrev_b32_e32 v19, 16, v7
	s_wait_alu 0xf1ff
	v_cndmask_b32_e64 v14, 0, 1, s1
	s_wait_alu 0xfffd
	v_cndmask_b32_e64 v18, 0, 1, vcc_lo
	v_cmp_gt_i32_e32 vcc_lo, 31, v25
	s_delay_alu instid0(VALU_DEP_3)
	v_or_b32_e32 v14, v15, v14
	v_lshl_or_b32 v15, v17, 12, v2
	v_and_or_b32 v5, 0x1ff, v6, v5
	v_lshl_or_b32 v18, v18, 9, 0x7c00
	s_wait_alu 0xfffd
	v_cndmask_b32_e32 v16, 0x7c00, v16, vcc_lo
	v_cmp_gt_i32_e32 vcc_lo, 1, v17
	v_mul_f64_e32 v[12:13], s[28:29], v[12:13]
	v_lshrrev_b32_e32 v20, 8, v6
	v_bfe_u32 v23, v6, 20, 11
	s_wait_alu 0xfffd
	v_cndmask_b32_e32 v14, v15, v14, vcc_lo
	v_cmp_eq_u32_e32 vcc_lo, 0x40f, v25
	s_delay_alu instid0(VALU_DEP_2)
	v_and_b32_e32 v15, 7, v14
	s_wait_alu 0xfffd
	v_cndmask_b32_e32 v16, v16, v18, vcc_lo
	s_wait_dscnt 0x0
	v_lshrrev_b32_e32 v18, 16, v10
	v_cmp_ne_u32_e32 vcc_lo, 0, v5
	v_lshrrev_b32_e32 v14, 2, v14
	v_cmp_eq_u32_e64 s0, 3, v15
	v_and_or_b32 v16, 0x8000, v21, v16
	v_mul_f16_e32 v25, v18, v19
	s_wait_alu 0xfffd
	v_cndmask_b32_e64 v5, 0, 1, vcc_lo
	v_cmp_lt_i32_e32 vcc_lo, 5, v15
	v_lshrrev_b32_e32 v21, 16, v3
	v_and_b32_e32 v16, 0xffff, v16
	v_fmac_f16_e32 v25, v10, v7
	v_and_or_b32 v5, 0xffe, v20, v5
	v_sub_nc_u32_e32 v20, 0x3f1, v23
	s_or_b32 vcc_lo, s0, vcc_lo
	s_delay_alu instid0(VALU_DEP_3)
	v_cvt_f32_f16_e32 v15, v25
	s_wait_alu 0xfffe
	v_add_co_ci_u32_e32 v25, vcc_lo, 0, v14, vcc_lo
	v_or_b32_e32 v26, 0x1000, v5
	v_med3_i32 v20, v20, 0, 13
	v_cmp_ne_u32_e32 vcc_lo, 0, v2
	v_cvt_f64_f32_e32 v[14:15], v15
	s_delay_alu instid0(VALU_DEP_3)
	v_lshrrev_b32_e32 v27, v20, v26
	s_wait_alu 0xfffd
	v_cndmask_b32_e64 v2, 0, 1, vcc_lo
	v_cmp_gt_i32_e32 vcc_lo, 31, v17
	v_and_or_b32 v3, 0x1ff, v13, v12
	v_add_nc_u32_e32 v12, 0xfffffc10, v23
	v_lshlrev_b32_e32 v20, v20, v27
	v_lshl_or_b32 v2, v2, 9, 0x7c00
	s_wait_alu 0xfffd
	v_cndmask_b32_e32 v25, 0x7c00, v25, vcc_lo
	v_cmp_eq_u32_e32 vcc_lo, 0x40f, v17
	s_wait_alu 0xfffd
	s_delay_alu instid0(VALU_DEP_2) | instskip(SKIP_3) | instid1(VALU_DEP_4)
	v_cndmask_b32_e32 v17, v25, v2, vcc_lo
	v_cmp_ne_u32_e32 vcc_lo, v20, v26
	v_mul_f16_e32 v2, v10, v19
	v_lshl_or_b32 v19, v12, 12, v5
	v_and_or_b32 v17, 0x8000, v21, v17
	s_wait_alu 0xfffd
	v_cndmask_b32_e64 v10, 0, 1, vcc_lo
	v_cmp_ne_u32_e32 vcc_lo, 0, v3
	v_fma_f16 v2, v7, v18, -v2
	v_lshrrev_b32_e32 v7, 8, v13
	v_bfe_u32 v18, v13, 20, 11
	v_or_b32_e32 v10, v27, v10
	s_wait_alu 0xfffd
	v_cndmask_b32_e64 v3, 0, 1, vcc_lo
	v_cvt_f32_f16_e32 v2, v2
	v_cmp_gt_i32_e32 vcc_lo, 1, v12
	v_sub_nc_u32_e32 v20, 0x3f1, v18
	v_add_nc_u32_e32 v18, 0xfffffc10, v18
	v_and_or_b32 v7, 0xffe, v7, v3
	v_cvt_f64_f32_e32 v[2:3], v2
	s_wait_alu 0xfffd
	v_cndmask_b32_e32 v10, v19, v10, vcc_lo
	v_med3_i32 v20, v20, 0, 13
	v_add_co_u32 v0, vcc_lo, v0, s26
	v_or_b32_e32 v19, 0x1000, v7
	s_delay_alu instid0(VALU_DEP_4)
	v_and_b32_e32 v23, 7, v10
	s_wait_alu 0xfffd
	v_add_co_ci_u32_e32 v1, vcc_lo, s27, v1, vcc_lo
	v_mul_f64_e32 v[14:15], s[28:29], v[14:15]
	v_lshrrev_b32_e32 v21, v20, v19
	v_cmp_lt_i32_e32 vcc_lo, 5, v23
	v_cmp_eq_u32_e64 s0, 3, v23
	v_lshrrev_b32_e32 v10, 2, v10
	global_store_b32 v[0:1], v22, off
	v_lshlrev_b32_e32 v20, v20, v21
	v_lshl_or_b32 v22, v17, 16, v16
	s_or_b32 vcc_lo, s0, vcc_lo
	v_lshl_or_b32 v17, v18, 12, v7
	s_wait_alu 0xfffe
	v_add_co_ci_u32_e32 v10, vcc_lo, 0, v10, vcc_lo
	v_cmp_ne_u32_e64 s1, v20, v19
	v_cmp_ne_u32_e32 vcc_lo, 0, v5
	v_lshrrev_b32_e32 v19, 16, v11
	s_wait_loadcnt 0x2
	v_lshrrev_b32_e32 v20, 16, v4
	v_lshrrev_b32_e32 v13, 16, v13
	s_wait_alu 0xf1ff
	v_cndmask_b32_e64 v16, 0, 1, s1
	s_wait_alu 0xfffd
	v_cndmask_b32_e64 v5, 0, 1, vcc_lo
	v_cmp_gt_i32_e32 vcc_lo, 1, v18
	s_delay_alu instid0(VALU_DEP_3) | instskip(NEXT) | instid1(VALU_DEP_3)
	v_or_b32_e32 v16, v21, v16
	v_lshl_or_b32 v5, v5, 9, 0x7c00
	s_wait_alu 0xfffd
	s_delay_alu instid0(VALU_DEP_2)
	v_cndmask_b32_e32 v16, v17, v16, vcc_lo
	v_cmp_gt_i32_e32 vcc_lo, 31, v12
	v_mul_f16_e32 v17, v19, v20
	v_mul_f64_e32 v[2:3], s[28:29], v[2:3]
	v_mul_f16_e32 v20, v11, v20
	s_wait_alu 0xfffd
	v_dual_cndmask_b32 v10, 0x7c00, v10 :: v_dual_and_b32 v21, 7, v16
	v_add_co_u32 v0, vcc_lo, v0, s26
	s_wait_alu 0xfffd
	v_add_co_ci_u32_e32 v1, vcc_lo, s27, v1, vcc_lo
	v_fmac_f16_e32 v17, v11, v4
	v_cmp_eq_u32_e32 vcc_lo, 0x40f, v12
	v_cmp_eq_u32_e64 s0, 3, v21
	v_lshrrev_b32_e32 v12, 16, v6
	v_lshrrev_b32_e32 v16, 2, v16
	v_and_or_b32 v14, 0x1ff, v15, v14
	s_wait_alu 0xfffd
	v_cndmask_b32_e32 v10, v10, v5, vcc_lo
	v_cvt_f32_f16_e32 v5, v17
	v_cmp_lt_i32_e32 vcc_lo, 5, v21
	v_lshrrev_b32_e32 v17, 8, v15
	v_bfe_u32 v21, v15, 20, 11
	global_store_b32 v[0:1], v22, off
	v_cvt_f64_f32_e32 v[5:6], v5
	s_or_b32 vcc_lo, s0, vcc_lo
	v_fma_f16 v4, v4, v19, -v20
	s_wait_alu 0xfffe
	v_add_co_ci_u32_e32 v16, vcc_lo, 0, v16, vcc_lo
	v_cmp_ne_u32_e32 vcc_lo, 0, v14
	v_sub_nc_u32_e32 v24, 0x3f1, v21
	v_add_nc_u32_e32 v21, 0xfffffc10, v21
	v_cvt_f32_f16_e32 v4, v4
	v_lshrrev_b32_e32 v15, 16, v15
	s_wait_alu 0xfffd
	v_cndmask_b32_e64 v14, 0, 1, vcc_lo
	v_cmp_ne_u32_e32 vcc_lo, 0, v7
	v_med3_i32 v24, v24, 0, 13
	v_mad_co_u64_u32 v[0:1], null, 0x280, s20, v[0:1]
	s_delay_alu instid0(VALU_DEP_4)
	v_and_or_b32 v14, 0xffe, v17, v14
	s_wait_alu 0xfffd
	v_cndmask_b32_e64 v7, 0, 1, vcc_lo
	v_cmp_gt_i32_e32 vcc_lo, 31, v18
	v_and_or_b32 v22, 0x1ff, v3, v2
	v_or_b32_e32 v25, 0x1000, v14
	s_delay_alu instid0(VALU_DEP_4)
	v_lshl_or_b32 v7, v7, 9, 0x7c00
	s_wait_alu 0xfffd
	v_cndmask_b32_e32 v23, 0x7c00, v16, vcc_lo
	v_mad_co_u64_u32 v[16:17], null, s20, v39, 0
	v_cmp_eq_u32_e32 vcc_lo, 0x40f, v18
	v_lshrrev_b32_e32 v18, v24, v25
	s_wait_alu 0xfffd
	s_delay_alu instid0(VALU_DEP_3) | instskip(SKIP_3) | instid1(VALU_DEP_4)
	v_dual_cndmask_b32 v7, v23, v7 :: v_dual_mov_b32 v2, v17
	v_cmp_ne_u32_e32 vcc_lo, 0, v22
	v_and_or_b32 v23, 0x8000, v12, v10
	v_lshlrev_b32_e32 v10, v24, v18
	v_and_or_b32 v7, 0x8000, v13, v7
	v_lshrrev_b32_e32 v22, 8, v3
	s_wait_alu 0xfffd
	v_cndmask_b32_e64 v17, 0, 1, vcc_lo
	v_mad_co_u64_u32 v[12:13], null, s21, v39, v[2:3]
	v_bfe_u32 v2, v3, 20, 11
	v_cmp_ne_u32_e32 vcc_lo, v10, v25
	v_add_nc_u32_e32 v10, 0xc00, v38
	v_mul_f64_e32 v[5:6], s[28:29], v[5:6]
	v_and_or_b32 v22, 0xffe, v22, v17
	v_sub_nc_u32_e32 v17, 0x3f1, v2
	s_wait_alu 0xfffd
	v_cndmask_b32_e64 v13, 0, 1, vcc_lo
	ds_load_2addr_b32 v[10:11], v10 offset0:112 offset1:192
	v_and_b32_e32 v19, 0xffff, v23
	v_or_b32_e32 v24, 0x1000, v22
	v_med3_i32 v25, v17, 0, 13
	v_mov_b32_e32 v17, v12
	v_or_b32_e32 v12, v18, v13
	v_lshl_or_b32 v13, v21, 12, v14
	v_cmp_gt_i32_e32 vcc_lo, 1, v21
	v_lshrrev_b32_e32 v18, v25, v24
	v_lshlrev_b64_e32 v[16:17], 2, v[16:17]
	v_lshl_or_b32 v19, v7, 16, v19
	v_add_nc_u32_e32 v2, 0xfffffc10, v2
	s_wait_alu 0xfffd
	v_cndmask_b32_e32 v20, v13, v12, vcc_lo
	v_lshlrev_b32_e32 v23, v25, v18
	s_wait_loadcnt 0x1
	v_lshrrev_b32_e32 v25, 16, v28
	v_cvt_f64_f32_e32 v[12:13], v4
	v_cmp_gt_i32_e64 s1, 1, v2
	v_and_b32_e32 v4, 7, v20
	v_cmp_ne_u32_e32 vcc_lo, v23, v24
	s_wait_dscnt 0x0
	v_lshrrev_b32_e32 v24, 16, v10
	s_delay_alu instid0(VALU_DEP_3)
	v_cmp_eq_u32_e64 s0, 3, v4
	s_wait_alu 0xfffd
	v_cndmask_b32_e64 v23, 0, 1, vcc_lo
	v_add_co_u32 v7, vcc_lo, v8, v16
	s_wait_alu 0xfffd
	v_add_co_ci_u32_e32 v8, vcc_lo, v9, v17, vcc_lo
	v_mul_f16_e32 v9, v24, v25
	v_or_b32_e32 v16, v18, v23
	v_lshl_or_b32 v17, v2, 12, v22
	v_cmp_lt_i32_e32 vcc_lo, 5, v4
	v_lshrrev_b32_e32 v4, 2, v20
	v_fmac_f16_e32 v9, v10, v28
	v_lshrrev_b32_e32 v20, 8, v6
	s_wait_alu 0xf1ff
	v_cndmask_b32_e64 v16, v17, v16, s1
	v_and_or_b32 v17, 0x1ff, v6, v5
	s_or_b32 vcc_lo, s0, vcc_lo
	v_cvt_f32_f16_e32 v5, v9
	s_wait_alu 0xfffe
	v_add_co_ci_u32_e32 v9, vcc_lo, 0, v4, vcc_lo
	v_cmp_ne_u32_e32 vcc_lo, 0, v17
	v_and_b32_e32 v18, 7, v16
	v_cvt_f64_f32_e32 v[4:5], v5
	v_lshrrev_b32_e32 v16, 2, v16
	v_bfe_u32 v23, v6, 20, 11
	s_wait_alu 0xfffd
	v_cndmask_b32_e64 v17, 0, 1, vcc_lo
	v_cmp_gt_i32_e32 vcc_lo, 31, v21
	v_cmp_eq_u32_e64 s0, 3, v18
	v_cmp_ne_u32_e64 s1, 0, v14
	v_lshrrev_b32_e32 v6, 16, v6
	v_and_or_b32 v17, 0xffe, v20, v17
	s_wait_alu 0xfffd
	v_cndmask_b32_e32 v9, 0x7c00, v9, vcc_lo
	v_cmp_lt_i32_e32 vcc_lo, 5, v18
	v_mul_f64_e32 v[12:13], s[28:29], v[12:13]
	v_sub_nc_u32_e32 v18, 0x3f1, v23
	s_wait_alu 0xf1ff
	v_cndmask_b32_e64 v14, 0, 1, s1
	v_or_b32_e32 v20, 0x1000, v17
	s_or_b32 vcc_lo, s0, vcc_lo
	s_wait_alu 0xfffe
	v_add_co_ci_u32_e32 v16, vcc_lo, 0, v16, vcc_lo
	v_cmp_ne_u32_e32 vcc_lo, 0, v22
	v_med3_i32 v18, v18, 0, 13
	v_lshl_or_b32 v14, v14, 9, 0x7c00
	s_wait_alu 0xfffd
	v_cndmask_b32_e64 v22, 0, 1, vcc_lo
	v_cmp_gt_i32_e32 vcc_lo, 31, v2
	v_lshrrev_b32_e32 v26, v18, v20
	s_delay_alu instid0(VALU_DEP_3)
	v_lshl_or_b32 v22, v22, 9, 0x7c00
	s_wait_alu 0xfffd
	v_cndmask_b32_e32 v16, 0x7c00, v16, vcc_lo
	v_cmp_eq_u32_e32 vcc_lo, 0x40f, v21
	s_wait_alu 0xfffd
	v_cndmask_b32_e32 v9, v9, v14, vcc_lo
	v_lshlrev_b32_e32 v14, v18, v26
	v_cmp_eq_u32_e32 vcc_lo, 0x40f, v2
	v_lshrrev_b32_e32 v18, 16, v3
	v_mul_f64_e32 v[2:3], s[28:29], v[4:5]
	v_mul_f16_e32 v4, v10, v25
	v_and_or_b32 v9, 0x8000, v15, v9
	s_wait_alu 0xfffd
	v_cndmask_b32_e32 v16, v16, v22, vcc_lo
	v_cmp_ne_u32_e32 vcc_lo, v14, v20
	v_add_nc_u32_e32 v20, 0xfffffc10, v23
	v_fma_f16 v4, v28, v24, -v4
	v_lshrrev_b32_e32 v23, 16, v11
	v_and_or_b32 v16, 0x8000, v18, v16
	s_wait_alu 0xfffd
	v_cndmask_b32_e64 v14, 0, 1, vcc_lo
	v_lshl_or_b32 v10, v20, 12, v17
	v_cmp_gt_i32_e32 vcc_lo, 1, v20
	v_cvt_f32_f16_e32 v4, v4
	v_lshrrev_b32_e32 v21, 8, v13
	v_or_b32_e32 v5, v26, v14
	v_bfe_u32 v22, v13, 20, 11
	s_wait_loadcnt 0x0
	v_lshrrev_b32_e32 v24, 16, v29
	s_wait_alu 0xfffd
	v_cndmask_b32_e32 v14, v10, v5, vcc_lo
	v_and_or_b32 v5, 0x1ff, v13, v12
	v_and_b32_e32 v12, 0xffff, v9
	v_lshrrev_b32_e32 v13, 16, v13
	s_delay_alu instid0(VALU_DEP_4) | instskip(NEXT) | instid1(VALU_DEP_4)
	v_and_b32_e32 v15, 7, v14
	v_cmp_ne_u32_e32 vcc_lo, 0, v5
	v_cvt_f64_f32_e32 v[4:5], v4
	v_lshrrev_b32_e32 v14, 2, v14
	v_lshl_or_b32 v12, v16, 16, v12
	v_cmp_eq_u32_e64 s0, 3, v15
	s_wait_alu 0xfffd
	v_cndmask_b32_e64 v18, 0, 1, vcc_lo
	v_cmp_lt_i32_e32 vcc_lo, 5, v15
	s_delay_alu instid0(VALU_DEP_2)
	v_and_or_b32 v18, 0xffe, v21, v18
	s_or_b32 vcc_lo, s0, vcc_lo
	v_mad_co_u64_u32 v[9:10], null, 0x280, s21, v[1:2]
	v_sub_nc_u32_e32 v1, 0x3f1, v22
	v_mul_f16_e32 v10, v23, v24
	s_wait_alu 0xfffe
	v_add_co_ci_u32_e32 v14, vcc_lo, 0, v14, vcc_lo
	v_or_b32_e32 v21, 0x1000, v18
	v_med3_i32 v1, v1, 0, 13
	v_cmp_ne_u32_e32 vcc_lo, 0, v17
	v_fmac_f16_e32 v10, v11, v29
	v_and_or_b32 v2, 0x1ff, v3, v2
	v_add_nc_u32_e32 v22, 0xfffffc10, v22
	v_lshrrev_b32_e32 v25, v1, v21
	s_wait_alu 0xfffd
	v_cndmask_b32_e64 v17, 0, 1, vcc_lo
	v_cmp_gt_i32_e32 vcc_lo, 31, v20
	v_cvt_f32_f16_e32 v10, v10
	v_lshlrev_b32_e32 v1, v1, v25
	s_delay_alu instid0(VALU_DEP_4)
	v_lshl_or_b32 v17, v17, 9, 0x7c00
	s_wait_alu 0xfffd
	v_cndmask_b32_e32 v26, 0x7c00, v14, vcc_lo
	v_cmp_ne_u32_e32 vcc_lo, 0, v2
	v_cvt_f64_f32_e32 v[14:15], v10
	v_mul_f16_e32 v10, v11, v24
	v_lshrrev_b32_e32 v11, 8, v3
	s_wait_alu 0xfffd
	v_cndmask_b32_e64 v2, 0, 1, vcc_lo
	v_cmp_ne_u32_e32 vcc_lo, v1, v21
	v_bfe_u32 v21, v3, 20, 11
	v_fma_f16 v10, v29, v23, -v10
	v_lshl_or_b32 v23, v22, 12, v18
	v_mul_f64_e32 v[4:5], s[28:29], v[4:5]
	s_wait_alu 0xfffd
	v_cndmask_b32_e64 v1, 0, 1, vcc_lo
	v_cmp_gt_i32_e32 vcc_lo, 1, v22
	v_and_or_b32 v2, 0xffe, v11, v2
	v_sub_nc_u32_e32 v11, 0x3f1, v21
	v_cvt_f32_f16_e32 v10, v10
	v_or_b32_e32 v1, v25, v1
	v_lshrrev_b32_e32 v3, 16, v3
	v_or_b32_e32 v24, 0x1000, v2
	v_med3_i32 v25, v11, 0, 13
	v_cvt_f64_f32_e32 v[10:11], v10
	s_wait_alu 0xfffd
	v_cndmask_b32_e32 v23, v23, v1, vcc_lo
	v_cmp_eq_u32_e32 vcc_lo, 0x40f, v20
	v_mov_b32_e32 v1, v9
	v_lshrrev_b32_e32 v20, v25, v24
	s_delay_alu instid0(VALU_DEP_4) | instskip(SKIP_2) | instid1(VALU_DEP_3)
	v_lshrrev_b32_e32 v16, 2, v23
	s_wait_alu 0xfffd
	v_dual_cndmask_b32 v17, v26, v17 :: v_dual_and_b32 v26, 7, v23
	v_lshlrev_b32_e32 v9, v25, v20
	s_delay_alu instid0(VALU_DEP_2) | instskip(NEXT) | instid1(VALU_DEP_3)
	v_and_or_b32 v6, 0x8000, v6, v17
	v_cmp_lt_i32_e32 vcc_lo, 5, v26
	v_cmp_eq_u32_e64 s0, 3, v26
	s_delay_alu instid0(VALU_DEP_4) | instskip(SKIP_2) | instid1(VALU_DEP_4)
	v_cmp_ne_u32_e64 s1, v9, v24
	v_add_nc_u32_e32 v17, 0xfffffc10, v21
	v_and_b32_e32 v6, 0xffff, v6
	s_or_b32 vcc_lo, s0, vcc_lo
	v_mul_f64_e32 v[14:15], s[28:29], v[14:15]
	s_wait_alu 0xfffe
	v_add_co_ci_u32_e32 v16, vcc_lo, 0, v16, vcc_lo
	v_cmp_ne_u32_e32 vcc_lo, 0, v18
	v_cndmask_b32_e64 v9, 0, 1, s1
	s_wait_alu 0xfffd
	v_cndmask_b32_e64 v18, 0, 1, vcc_lo
	v_cmp_gt_i32_e32 vcc_lo, 31, v22
	s_delay_alu instid0(VALU_DEP_3)
	v_or_b32_e32 v9, v20, v9
	v_lshl_or_b32 v20, v17, 12, v2
	v_and_or_b32 v4, 0x1ff, v5, v4
	v_lshl_or_b32 v18, v18, 9, 0x7c00
	s_wait_alu 0xfffd
	v_cndmask_b32_e32 v16, 0x7c00, v16, vcc_lo
	v_cmp_gt_i32_e32 vcc_lo, 1, v17
	v_lshrrev_b32_e32 v21, 8, v5
	s_wait_alu 0xfffd
	v_cndmask_b32_e32 v20, v20, v9, vcc_lo
	v_cmp_eq_u32_e32 vcc_lo, 0x40f, v22
	v_mul_f64_e32 v[9:10], s[28:29], v[10:11]
	v_bfe_u32 v11, v5, 20, 11
	v_lshrrev_b32_e32 v5, 16, v5
	s_wait_alu 0xfffd
	v_cndmask_b32_e32 v16, v16, v18, vcc_lo
	v_cmp_ne_u32_e32 vcc_lo, 0, v4
	v_and_b32_e32 v18, 7, v20
	s_delay_alu instid0(VALU_DEP_3) | instskip(SKIP_2) | instid1(VALU_DEP_3)
	v_and_or_b32 v13, 0x8000, v13, v16
	s_wait_alu 0xfffd
	v_cndmask_b32_e64 v4, 0, 1, vcc_lo
	v_cmp_lt_i32_e32 vcc_lo, 5, v18
	v_cmp_eq_u32_e64 s0, 3, v18
	v_sub_nc_u32_e32 v16, 0x3f1, v11
	v_lshl_or_b32 v6, v13, 16, v6
	v_lshrrev_b32_e32 v13, 2, v20
	v_and_or_b32 v4, 0xffe, v21, v4
	s_or_b32 vcc_lo, s0, vcc_lo
	v_med3_i32 v16, v16, 0, 13
	v_and_or_b32 v14, 0x1ff, v15, v14
	s_wait_alu 0xfffe
	v_add_co_ci_u32_e32 v13, vcc_lo, 0, v13, vcc_lo
	v_or_b32_e32 v18, 0x1000, v4
	v_cmp_ne_u32_e32 vcc_lo, 0, v2
	v_lshrrev_b32_e32 v21, 8, v15
	v_bfe_u32 v22, v15, 20, 11
	v_add_nc_u32_e32 v11, 0xfffffc10, v11
	v_lshrrev_b32_e32 v20, v16, v18
	s_wait_alu 0xfffd
	v_cndmask_b32_e64 v2, 0, 1, vcc_lo
	v_cmp_gt_i32_e32 vcc_lo, 31, v17
	s_delay_alu instid0(VALU_DEP_3) | instskip(NEXT) | instid1(VALU_DEP_3)
	v_lshlrev_b32_e32 v16, v16, v20
	v_lshl_or_b32 v2, v2, 9, 0x7c00
	s_wait_alu 0xfffd
	v_cndmask_b32_e32 v13, 0x7c00, v13, vcc_lo
	v_cmp_ne_u32_e32 vcc_lo, 0, v14
	v_and_or_b32 v9, 0x1ff, v10, v9
	s_wait_alu 0xfffd
	v_cndmask_b32_e64 v14, 0, 1, vcc_lo
	v_cmp_ne_u32_e32 vcc_lo, v16, v18
	v_sub_nc_u32_e32 v18, 0x3f1, v22
	s_delay_alu instid0(VALU_DEP_3)
	v_and_or_b32 v14, 0xffe, v21, v14
	s_wait_alu 0xfffd
	v_cndmask_b32_e64 v16, 0, 1, vcc_lo
	v_cmp_eq_u32_e32 vcc_lo, 0x40f, v17
	v_med3_i32 v18, v18, 0, 13
	v_bfe_u32 v21, v10, 20, 11
	v_or_b32_e32 v17, 0x1000, v14
	s_wait_alu 0xfffd
	v_cndmask_b32_e32 v2, v13, v2, vcc_lo
	v_or_b32_e32 v13, v20, v16
	v_lshl_or_b32 v16, v11, 12, v4
	v_cmp_gt_i32_e32 vcc_lo, 1, v11
	v_lshrrev_b32_e32 v20, 8, v10
	v_and_or_b32 v2, 0x8000, v3, v2
	v_lshrrev_b32_e32 v10, 16, v10
	s_wait_alu 0xfffd
	v_cndmask_b32_e32 v13, v16, v13, vcc_lo
	v_lshrrev_b32_e32 v16, v18, v17
	v_cmp_ne_u32_e32 vcc_lo, 0, v9
	s_delay_alu instid0(VALU_DEP_3) | instskip(NEXT) | instid1(VALU_DEP_3)
	v_and_b32_e32 v23, 7, v13
	v_lshlrev_b32_e32 v18, v18, v16
	s_wait_alu 0xfffd
	v_cndmask_b32_e64 v9, 0, 1, vcc_lo
	v_lshrrev_b32_e32 v13, 2, v13
	v_cmp_lt_i32_e32 vcc_lo, 5, v23
	v_cmp_ne_u32_e64 s0, v18, v17
	s_delay_alu instid0(VALU_DEP_4)
	v_and_or_b32 v3, 0xffe, v20, v9
	v_sub_nc_u32_e32 v9, 0x3f1, v21
	v_add_nc_u32_e32 v20, 0xfffffc10, v22
	s_wait_alu 0xf1ff
	v_cndmask_b32_e64 v17, 0, 1, s0
	v_cmp_eq_u32_e64 s0, 3, v23
	v_or_b32_e32 v18, 0x1000, v3
	v_med3_i32 v9, v9, 0, 13
	v_lshl_or_b32 v22, v20, 12, v14
	v_or_b32_e32 v16, v16, v17
	s_or_b32 vcc_lo, s0, vcc_lo
	s_wait_alu 0xfffe
	v_add_co_ci_u32_e32 v13, vcc_lo, 0, v13, vcc_lo
	v_lshrrev_b32_e32 v17, v9, v18
	v_cmp_gt_i32_e32 vcc_lo, 1, v20
	s_wait_alu 0xfffd
	s_delay_alu instid0(VALU_DEP_2) | instskip(SKIP_3) | instid1(VALU_DEP_3)
	v_dual_cndmask_b32 v16, v22, v16 :: v_dual_lshlrev_b32 v9, v9, v17
	v_cmp_ne_u32_e32 vcc_lo, 0, v4
	s_wait_alu 0xfffd
	v_cndmask_b32_e64 v4, 0, 1, vcc_lo
	v_cmp_ne_u32_e32 vcc_lo, v9, v18
	v_add_nc_u32_e32 v18, 0xfffffc10, v21
	v_and_b32_e32 v21, 7, v16
	s_delay_alu instid0(VALU_DEP_4)
	v_lshl_or_b32 v4, v4, 9, 0x7c00
	s_wait_alu 0xfffd
	v_cndmask_b32_e64 v9, 0, 1, vcc_lo
	v_cmp_gt_i32_e32 vcc_lo, 31, v11
	v_cmp_gt_i32_e64 s1, 1, v18
	v_cmp_eq_u32_e64 s0, 3, v21
	s_delay_alu instid0(VALU_DEP_4)
	v_or_b32_e32 v9, v17, v9
	v_lshl_or_b32 v17, v18, 12, v3
	s_wait_alu 0xfffd
	v_cndmask_b32_e32 v13, 0x7c00, v13, vcc_lo
	v_cmp_lt_i32_e32 vcc_lo, 5, v21
	s_wait_alu 0xf1ff
	v_cndmask_b32_e64 v9, v17, v9, s1
	v_cmp_eq_u32_e64 s1, 0x40f, v11
	v_lshrrev_b32_e32 v11, 2, v16
	s_or_b32 vcc_lo, s0, vcc_lo
	s_delay_alu instid0(VALU_DEP_2) | instskip(SKIP_1) | instid1(VALU_DEP_2)
	v_cndmask_b32_e64 v4, v13, v4, s1
	s_wait_alu 0xfffe
	v_add_co_ci_u32_e32 v11, vcc_lo, 0, v11, vcc_lo
	v_and_b32_e32 v13, 7, v9
	v_cmp_ne_u32_e32 vcc_lo, 0, v14
	v_lshrrev_b32_e32 v9, 2, v9
	v_cmp_gt_i32_e64 s1, 31, v20
	v_and_or_b32 v4, 0x8000, v5, v4
	v_cmp_eq_u32_e64 s0, 3, v13
	s_wait_alu 0xfffd
	v_cndmask_b32_e64 v14, 0, 1, vcc_lo
	v_cmp_lt_i32_e32 vcc_lo, 5, v13
	s_wait_alu 0xf1ff
	v_cndmask_b32_e64 v11, 0x7c00, v11, s1
	v_and_b32_e32 v5, 0xffff, v2
	v_lshl_or_b32 v13, v14, 9, 0x7c00
	s_or_b32 vcc_lo, s0, vcc_lo
	s_wait_alu 0xfffe
	v_add_co_ci_u32_e32 v9, vcc_lo, 0, v9, vcc_lo
	v_cmp_ne_u32_e32 vcc_lo, 0, v3
	s_wait_alu 0xfffd
	v_cndmask_b32_e64 v3, 0, 1, vcc_lo
	v_cmp_eq_u32_e32 vcc_lo, 0x40f, v20
	s_delay_alu instid0(VALU_DEP_2)
	v_lshl_or_b32 v3, v3, 9, 0x7c00
	s_wait_alu 0xfffd
	v_cndmask_b32_e32 v11, v11, v13, vcc_lo
	v_cmp_gt_i32_e32 vcc_lo, 31, v18
	v_lshrrev_b32_e32 v13, 16, v15
	s_wait_alu 0xfffd
	v_cndmask_b32_e32 v9, 0x7c00, v9, vcc_lo
	v_cmp_eq_u32_e32 vcc_lo, 0x40f, v18
	s_delay_alu instid0(VALU_DEP_3)
	v_and_or_b32 v11, 0x8000, v13, v11
	v_lshl_or_b32 v13, v4, 16, v5
	s_wait_alu 0xfffd
	v_cndmask_b32_e32 v9, v9, v3, vcc_lo
	v_add_co_u32 v2, vcc_lo, v0, s26
	s_wait_alu 0xfffd
	v_add_co_ci_u32_e32 v3, vcc_lo, s27, v1, vcc_lo
	s_delay_alu instid0(VALU_DEP_3) | instskip(SKIP_4) | instid1(VALU_DEP_3)
	v_and_or_b32 v9, 0x8000, v10, v9
	v_and_b32_e32 v10, 0xffff, v11
	v_add_co_u32 v4, vcc_lo, v2, s26
	s_wait_alu 0xfffd
	v_add_co_ci_u32_e32 v5, vcc_lo, s27, v3, vcc_lo
	v_lshl_or_b32 v11, v9, 16, v10
	s_delay_alu instid0(VALU_DEP_3) | instskip(SKIP_1) | instid1(VALU_DEP_3)
	v_add_co_u32 v9, vcc_lo, v4, s26
	s_wait_alu 0xfffd
	v_add_co_ci_u32_e32 v10, vcc_lo, s27, v5, vcc_lo
	global_store_b32 v[7:8], v19, off
	global_store_b32 v[0:1], v12, off
	;; [unrolled: 1-line block ×5, first 2 shown]
.LBB0_23:
	s_nop 0
	s_sendmsg sendmsg(MSG_DEALLOC_VGPRS)
	s_endpgm
	.section	.rodata,"a",@progbits
	.p2align	6, 0x0
	.amdhsa_kernel bluestein_single_fwd_len1040_dim1_half_op_CI_CI
		.amdhsa_group_segment_fixed_size 4160
		.amdhsa_private_segment_fixed_size 0
		.amdhsa_kernarg_size 104
		.amdhsa_user_sgpr_count 2
		.amdhsa_user_sgpr_dispatch_ptr 0
		.amdhsa_user_sgpr_queue_ptr 0
		.amdhsa_user_sgpr_kernarg_segment_ptr 1
		.amdhsa_user_sgpr_dispatch_id 0
		.amdhsa_user_sgpr_private_segment_size 0
		.amdhsa_wavefront_size32 1
		.amdhsa_uses_dynamic_stack 0
		.amdhsa_enable_private_segment 0
		.amdhsa_system_sgpr_workgroup_id_x 1
		.amdhsa_system_sgpr_workgroup_id_y 0
		.amdhsa_system_sgpr_workgroup_id_z 0
		.amdhsa_system_sgpr_workgroup_info 0
		.amdhsa_system_vgpr_workitem_id 0
		.amdhsa_next_free_vgpr 142
		.amdhsa_next_free_sgpr 30
		.amdhsa_reserve_vcc 1
		.amdhsa_float_round_mode_32 0
		.amdhsa_float_round_mode_16_64 0
		.amdhsa_float_denorm_mode_32 3
		.amdhsa_float_denorm_mode_16_64 3
		.amdhsa_fp16_overflow 0
		.amdhsa_workgroup_processor_mode 1
		.amdhsa_memory_ordered 1
		.amdhsa_forward_progress 0
		.amdhsa_round_robin_scheduling 0
		.amdhsa_exception_fp_ieee_invalid_op 0
		.amdhsa_exception_fp_denorm_src 0
		.amdhsa_exception_fp_ieee_div_zero 0
		.amdhsa_exception_fp_ieee_overflow 0
		.amdhsa_exception_fp_ieee_underflow 0
		.amdhsa_exception_fp_ieee_inexact 0
		.amdhsa_exception_int_div_zero 0
	.end_amdhsa_kernel
	.text
.Lfunc_end0:
	.size	bluestein_single_fwd_len1040_dim1_half_op_CI_CI, .Lfunc_end0-bluestein_single_fwd_len1040_dim1_half_op_CI_CI
                                        ; -- End function
	.section	.AMDGPU.csdata,"",@progbits
; Kernel info:
; codeLenInByte = 22492
; NumSgprs: 32
; NumVgprs: 142
; ScratchSize: 0
; MemoryBound: 0
; FloatMode: 240
; IeeeMode: 1
; LDSByteSize: 4160 bytes/workgroup (compile time only)
; SGPRBlocks: 3
; VGPRBlocks: 17
; NumSGPRsForWavesPerEU: 32
; NumVGPRsForWavesPerEU: 142
; Occupancy: 10
; WaveLimiterHint : 1
; COMPUTE_PGM_RSRC2:SCRATCH_EN: 0
; COMPUTE_PGM_RSRC2:USER_SGPR: 2
; COMPUTE_PGM_RSRC2:TRAP_HANDLER: 0
; COMPUTE_PGM_RSRC2:TGID_X_EN: 1
; COMPUTE_PGM_RSRC2:TGID_Y_EN: 0
; COMPUTE_PGM_RSRC2:TGID_Z_EN: 0
; COMPUTE_PGM_RSRC2:TIDIG_COMP_CNT: 0
	.text
	.p2alignl 7, 3214868480
	.fill 96, 4, 3214868480
	.type	__hip_cuid_f57893b83294e9b6,@object ; @__hip_cuid_f57893b83294e9b6
	.section	.bss,"aw",@nobits
	.globl	__hip_cuid_f57893b83294e9b6
__hip_cuid_f57893b83294e9b6:
	.byte	0                               ; 0x0
	.size	__hip_cuid_f57893b83294e9b6, 1

	.ident	"AMD clang version 19.0.0git (https://github.com/RadeonOpenCompute/llvm-project roc-6.4.0 25133 c7fe45cf4b819c5991fe208aaa96edf142730f1d)"
	.section	".note.GNU-stack","",@progbits
	.addrsig
	.addrsig_sym __hip_cuid_f57893b83294e9b6
	.amdgpu_metadata
---
amdhsa.kernels:
  - .args:
      - .actual_access:  read_only
        .address_space:  global
        .offset:         0
        .size:           8
        .value_kind:     global_buffer
      - .actual_access:  read_only
        .address_space:  global
        .offset:         8
        .size:           8
        .value_kind:     global_buffer
      - .actual_access:  read_only
        .address_space:  global
        .offset:         16
        .size:           8
        .value_kind:     global_buffer
      - .actual_access:  read_only
        .address_space:  global
        .offset:         24
        .size:           8
        .value_kind:     global_buffer
      - .actual_access:  read_only
        .address_space:  global
        .offset:         32
        .size:           8
        .value_kind:     global_buffer
      - .offset:         40
        .size:           8
        .value_kind:     by_value
      - .address_space:  global
        .offset:         48
        .size:           8
        .value_kind:     global_buffer
      - .address_space:  global
        .offset:         56
        .size:           8
        .value_kind:     global_buffer
      - .address_space:  global
        .offset:         64
        .size:           8
        .value_kind:     global_buffer
      - .address_space:  global
        .offset:         72
        .size:           8
        .value_kind:     global_buffer
      - .offset:         80
        .size:           4
        .value_kind:     by_value
      - .address_space:  global
        .offset:         88
        .size:           8
        .value_kind:     global_buffer
      - .address_space:  global
        .offset:         96
        .size:           8
        .value_kind:     global_buffer
    .group_segment_fixed_size: 4160
    .kernarg_segment_align: 8
    .kernarg_segment_size: 104
    .language:       OpenCL C
    .language_version:
      - 2
      - 0
    .max_flat_workgroup_size: 208
    .name:           bluestein_single_fwd_len1040_dim1_half_op_CI_CI
    .private_segment_fixed_size: 0
    .sgpr_count:     32
    .sgpr_spill_count: 0
    .symbol:         bluestein_single_fwd_len1040_dim1_half_op_CI_CI.kd
    .uniform_work_group_size: 1
    .uses_dynamic_stack: false
    .vgpr_count:     142
    .vgpr_spill_count: 0
    .wavefront_size: 32
    .workgroup_processor_mode: 1
amdhsa.target:   amdgcn-amd-amdhsa--gfx1201
amdhsa.version:
  - 1
  - 2
...

	.end_amdgpu_metadata
